;; amdgpu-corpus repo=ROCm/rocFFT kind=compiled arch=gfx906 opt=O3
	.text
	.amdgcn_target "amdgcn-amd-amdhsa--gfx906"
	.amdhsa_code_object_version 6
	.protected	fft_rtc_fwd_len425_factors_17_5_5_wgs_51_tpt_17_halfLds_sp_op_CI_CI_sbrr_dirReg ; -- Begin function fft_rtc_fwd_len425_factors_17_5_5_wgs_51_tpt_17_halfLds_sp_op_CI_CI_sbrr_dirReg
	.globl	fft_rtc_fwd_len425_factors_17_5_5_wgs_51_tpt_17_halfLds_sp_op_CI_CI_sbrr_dirReg
	.p2align	8
	.type	fft_rtc_fwd_len425_factors_17_5_5_wgs_51_tpt_17_halfLds_sp_op_CI_CI_sbrr_dirReg,@function
fft_rtc_fwd_len425_factors_17_5_5_wgs_51_tpt_17_halfLds_sp_op_CI_CI_sbrr_dirReg: ; @fft_rtc_fwd_len425_factors_17_5_5_wgs_51_tpt_17_halfLds_sp_op_CI_CI_sbrr_dirReg
; %bb.0:
	s_load_dwordx4 s[16:19], s[4:5], 0x18
	s_load_dwordx4 s[12:15], s[4:5], 0x0
	;; [unrolled: 1-line block ×3, first 2 shown]
	v_mul_u32_u24_e32 v1, 0xf10, v0
	v_lshrrev_b32_e32 v1, 16, v1
	v_mad_u64_u32 v[73:74], s[0:1], s6, 3, v[1:2]
	s_waitcnt lgkmcnt(0)
	s_load_dwordx2 s[20:21], s[16:17], 0x0
	s_load_dwordx2 s[2:3], s[18:19], 0x0
	v_mov_b32_e32 v5, 0
	v_cmp_lt_u64_e64 s[0:1], s[14:15], 2
	v_mov_b32_e32 v75, 0
	v_mov_b32_e32 v74, v5
	;; [unrolled: 1-line block ×5, first 2 shown]
	s_and_b64 vcc, exec, s[0:1]
	v_mov_b32_e32 v2, v76
	v_mov_b32_e32 v4, v74
	s_cbranch_vccnz .LBB0_8
; %bb.1:
	s_load_dwordx2 s[0:1], s[4:5], 0x10
	s_add_u32 s6, s18, 8
	s_addc_u32 s7, s19, 0
	s_add_u32 s22, s16, 8
	s_addc_u32 s23, s17, 0
	v_mov_b32_e32 v75, 0
	s_waitcnt lgkmcnt(0)
	s_add_u32 s24, s0, 8
	v_mov_b32_e32 v76, 0
	v_mov_b32_e32 v1, v75
	;; [unrolled: 1-line block ×3, first 2 shown]
	s_addc_u32 s25, s1, 0
	s_mov_b64 s[26:27], 1
	v_mov_b32_e32 v2, v76
	v_mov_b32_e32 v8, v74
.LBB0_2:                                ; =>This Inner Loop Header: Depth=1
	s_load_dwordx2 s[28:29], s[24:25], 0x0
                                        ; implicit-def: $vgpr3_vgpr4
	s_waitcnt lgkmcnt(0)
	v_or_b32_e32 v6, s29, v8
	v_cmp_ne_u64_e32 vcc, 0, v[5:6]
	s_and_saveexec_b64 s[0:1], vcc
	s_xor_b64 s[30:31], exec, s[0:1]
	s_cbranch_execz .LBB0_4
; %bb.3:                                ;   in Loop: Header=BB0_2 Depth=1
	v_cvt_f32_u32_e32 v3, s28
	v_cvt_f32_u32_e32 v4, s29
	s_sub_u32 s0, 0, s28
	s_subb_u32 s1, 0, s29
	v_mac_f32_e32 v3, 0x4f800000, v4
	v_rcp_f32_e32 v3, v3
	v_mul_f32_e32 v3, 0x5f7ffffc, v3
	v_mul_f32_e32 v4, 0x2f800000, v3
	v_trunc_f32_e32 v4, v4
	v_mac_f32_e32 v3, 0xcf800000, v4
	v_cvt_u32_f32_e32 v4, v4
	v_cvt_u32_f32_e32 v3, v3
	v_mul_lo_u32 v6, s0, v4
	v_mul_hi_u32 v9, s0, v3
	v_mul_lo_u32 v11, s1, v3
	v_mul_lo_u32 v10, s0, v3
	v_add_u32_e32 v6, v9, v6
	v_add_u32_e32 v6, v6, v11
	v_mul_hi_u32 v9, v3, v10
	v_mul_lo_u32 v11, v3, v6
	v_mul_hi_u32 v13, v3, v6
	v_mul_hi_u32 v12, v4, v10
	v_mul_lo_u32 v10, v4, v10
	v_mul_hi_u32 v14, v4, v6
	v_add_co_u32_e32 v9, vcc, v9, v11
	v_addc_co_u32_e32 v11, vcc, 0, v13, vcc
	v_mul_lo_u32 v6, v4, v6
	v_add_co_u32_e32 v9, vcc, v9, v10
	v_addc_co_u32_e32 v9, vcc, v11, v12, vcc
	v_addc_co_u32_e32 v10, vcc, 0, v14, vcc
	v_add_co_u32_e32 v6, vcc, v9, v6
	v_addc_co_u32_e32 v9, vcc, 0, v10, vcc
	v_add_co_u32_e32 v3, vcc, v3, v6
	v_addc_co_u32_e32 v4, vcc, v4, v9, vcc
	v_mul_lo_u32 v6, s0, v4
	v_mul_hi_u32 v9, s0, v3
	v_mul_lo_u32 v10, s1, v3
	v_mul_lo_u32 v11, s0, v3
	v_add_u32_e32 v6, v9, v6
	v_add_u32_e32 v6, v6, v10
	v_mul_lo_u32 v12, v3, v6
	v_mul_hi_u32 v13, v3, v11
	v_mul_hi_u32 v14, v3, v6
	;; [unrolled: 1-line block ×3, first 2 shown]
	v_mul_lo_u32 v11, v4, v11
	v_mul_hi_u32 v9, v4, v6
	v_add_co_u32_e32 v12, vcc, v13, v12
	v_addc_co_u32_e32 v13, vcc, 0, v14, vcc
	v_mul_lo_u32 v6, v4, v6
	v_add_co_u32_e32 v11, vcc, v12, v11
	v_addc_co_u32_e32 v10, vcc, v13, v10, vcc
	v_addc_co_u32_e32 v9, vcc, 0, v9, vcc
	v_add_co_u32_e32 v6, vcc, v10, v6
	v_addc_co_u32_e32 v9, vcc, 0, v9, vcc
	v_add_co_u32_e32 v6, vcc, v3, v6
	v_addc_co_u32_e32 v9, vcc, v4, v9, vcc
	v_mad_u64_u32 v[3:4], s[0:1], v7, v9, 0
	v_mul_hi_u32 v10, v7, v6
	v_add_co_u32_e32 v11, vcc, v10, v3
	v_addc_co_u32_e32 v12, vcc, 0, v4, vcc
	v_mad_u64_u32 v[3:4], s[0:1], v8, v6, 0
	v_mad_u64_u32 v[9:10], s[0:1], v8, v9, 0
	v_add_co_u32_e32 v3, vcc, v11, v3
	v_addc_co_u32_e32 v3, vcc, v12, v4, vcc
	v_addc_co_u32_e32 v4, vcc, 0, v10, vcc
	v_add_co_u32_e32 v6, vcc, v3, v9
	v_addc_co_u32_e32 v9, vcc, 0, v4, vcc
	v_mul_lo_u32 v10, s29, v6
	v_mul_lo_u32 v11, s28, v9
	v_mad_u64_u32 v[3:4], s[0:1], s28, v6, 0
	v_add3_u32 v4, v4, v11, v10
	v_sub_u32_e32 v10, v8, v4
	v_mov_b32_e32 v11, s29
	v_sub_co_u32_e32 v3, vcc, v7, v3
	v_subb_co_u32_e64 v10, s[0:1], v10, v11, vcc
	v_subrev_co_u32_e64 v11, s[0:1], s28, v3
	v_subbrev_co_u32_e64 v10, s[0:1], 0, v10, s[0:1]
	v_cmp_le_u32_e64 s[0:1], s29, v10
	v_cndmask_b32_e64 v12, 0, -1, s[0:1]
	v_cmp_le_u32_e64 s[0:1], s28, v11
	v_cndmask_b32_e64 v11, 0, -1, s[0:1]
	v_cmp_eq_u32_e64 s[0:1], s29, v10
	v_cndmask_b32_e64 v10, v12, v11, s[0:1]
	v_add_co_u32_e64 v11, s[0:1], 2, v6
	v_addc_co_u32_e64 v12, s[0:1], 0, v9, s[0:1]
	v_add_co_u32_e64 v13, s[0:1], 1, v6
	v_addc_co_u32_e64 v14, s[0:1], 0, v9, s[0:1]
	v_subb_co_u32_e32 v4, vcc, v8, v4, vcc
	v_cmp_ne_u32_e64 s[0:1], 0, v10
	v_cmp_le_u32_e32 vcc, s29, v4
	v_cndmask_b32_e64 v10, v14, v12, s[0:1]
	v_cndmask_b32_e64 v12, 0, -1, vcc
	v_cmp_le_u32_e32 vcc, s28, v3
	v_cndmask_b32_e64 v3, 0, -1, vcc
	v_cmp_eq_u32_e32 vcc, s29, v4
	v_cndmask_b32_e32 v3, v12, v3, vcc
	v_cmp_ne_u32_e32 vcc, 0, v3
	v_cndmask_b32_e64 v3, v13, v11, s[0:1]
	v_cndmask_b32_e32 v4, v9, v10, vcc
	v_cndmask_b32_e32 v3, v6, v3, vcc
.LBB0_4:                                ;   in Loop: Header=BB0_2 Depth=1
	s_andn2_saveexec_b64 s[0:1], s[30:31]
	s_cbranch_execz .LBB0_6
; %bb.5:                                ;   in Loop: Header=BB0_2 Depth=1
	v_cvt_f32_u32_e32 v3, s28
	s_sub_i32 s30, 0, s28
	v_rcp_iflag_f32_e32 v3, v3
	v_mul_f32_e32 v3, 0x4f7ffffe, v3
	v_cvt_u32_f32_e32 v3, v3
	v_mul_lo_u32 v4, s30, v3
	v_mul_hi_u32 v4, v3, v4
	v_add_u32_e32 v3, v3, v4
	v_mul_hi_u32 v3, v7, v3
	v_mul_lo_u32 v4, v3, s28
	v_add_u32_e32 v6, 1, v3
	v_sub_u32_e32 v4, v7, v4
	v_subrev_u32_e32 v9, s28, v4
	v_cmp_le_u32_e32 vcc, s28, v4
	v_cndmask_b32_e32 v4, v4, v9, vcc
	v_cndmask_b32_e32 v3, v3, v6, vcc
	v_add_u32_e32 v6, 1, v3
	v_cmp_le_u32_e32 vcc, s28, v4
	v_cndmask_b32_e32 v3, v3, v6, vcc
	v_mov_b32_e32 v4, v5
.LBB0_6:                                ;   in Loop: Header=BB0_2 Depth=1
	s_or_b64 exec, exec, s[0:1]
	v_mul_lo_u32 v6, v4, s28
	v_mul_lo_u32 v11, v3, s29
	v_mad_u64_u32 v[9:10], s[0:1], v3, s28, 0
	s_load_dwordx2 s[0:1], s[22:23], 0x0
	s_load_dwordx2 s[28:29], s[6:7], 0x0
	v_add3_u32 v6, v10, v11, v6
	v_sub_co_u32_e32 v7, vcc, v7, v9
	v_subb_co_u32_e32 v6, vcc, v8, v6, vcc
	s_waitcnt lgkmcnt(0)
	v_mul_lo_u32 v8, s0, v6
	v_mul_lo_u32 v9, s1, v7
	v_mad_u64_u32 v[75:76], s[0:1], s0, v7, v[75:76]
	v_mul_lo_u32 v6, s28, v6
	v_mul_lo_u32 v10, s29, v7
	v_mad_u64_u32 v[1:2], s[0:1], s28, v7, v[1:2]
	s_add_u32 s26, s26, 1
	s_addc_u32 s27, s27, 0
	s_add_u32 s6, s6, 8
	v_add3_u32 v2, v10, v2, v6
	s_addc_u32 s7, s7, 0
	v_mov_b32_e32 v6, s14
	s_add_u32 s22, s22, 8
	v_mov_b32_e32 v7, s15
	s_addc_u32 s23, s23, 0
	v_cmp_ge_u64_e32 vcc, s[26:27], v[6:7]
	s_add_u32 s24, s24, 8
	v_add3_u32 v76, v9, v76, v8
	s_addc_u32 s25, s25, 0
	s_cbranch_vccnz .LBB0_8
; %bb.7:                                ;   in Loop: Header=BB0_2 Depth=1
	v_mov_b32_e32 v8, v4
	v_mov_b32_e32 v7, v3
	s_branch .LBB0_2
.LBB0_8:
	s_load_dwordx2 s[0:1], s[4:5], 0x28
	s_lshl_b64 s[14:15], s[14:15], 3
	s_add_u32 s4, s18, s14
	s_addc_u32 s5, s19, s15
                                        ; implicit-def: $sgpr18
                                        ; implicit-def: $vgpr74
	s_waitcnt lgkmcnt(0)
	v_cmp_gt_u64_e32 vcc, s[0:1], v[3:4]
	v_cmp_le_u64_e64 s[0:1], s[0:1], v[3:4]
	s_and_saveexec_b64 s[6:7], s[0:1]
	s_xor_b64 s[0:1], exec, s[6:7]
; %bb.9:
	s_mov_b32 s6, 0xf0f0f10
	v_mul_hi_u32 v5, v0, s6
	s_mov_b32 s18, 0
                                        ; implicit-def: $vgpr75_vgpr76
	v_mul_u32_u24_e32 v5, 17, v5
	v_sub_u32_e32 v74, v0, v5
                                        ; implicit-def: $vgpr0
; %bb.10:
	s_or_saveexec_b64 s[6:7], s[0:1]
	s_load_dwordx2 s[4:5], s[4:5], 0x0
	v_mov_b32_e32 v14, s18
	v_mov_b32_e32 v13, s18
                                        ; implicit-def: $vgpr44
                                        ; implicit-def: $vgpr54
                                        ; implicit-def: $vgpr46
                                        ; implicit-def: $vgpr36
                                        ; implicit-def: $vgpr40
                                        ; implicit-def: $vgpr30
                                        ; implicit-def: $vgpr22
                                        ; implicit-def: $vgpr12
                                        ; implicit-def: $vgpr18
                                        ; implicit-def: $vgpr48
                                        ; implicit-def: $vgpr38
                                        ; implicit-def: $vgpr26
                                        ; implicit-def: $vgpr34
                                        ; implicit-def: $vgpr24
                                        ; implicit-def: $vgpr16
                                        ; implicit-def: $vgpr8
                                        ; implicit-def: $vgpr10
                                        ; implicit-def: $vgpr68
                                        ; implicit-def: $vgpr62
                                        ; implicit-def: $vgpr58
                                        ; implicit-def: $vgpr56
                                        ; implicit-def: $vgpr52
                                        ; implicit-def: $vgpr28
                                        ; implicit-def: $vgpr20
                                        ; implicit-def: $vgpr6
                                        ; implicit-def: $vgpr72
                                        ; implicit-def: $vgpr70
                                        ; implicit-def: $vgpr66
                                        ; implicit-def: $vgpr64
                                        ; implicit-def: $vgpr60
                                        ; implicit-def: $vgpr50
                                        ; implicit-def: $vgpr42
                                        ; implicit-def: $vgpr32
	s_xor_b64 exec, exec, s[6:7]
	s_cbranch_execz .LBB0_14
; %bb.11:
	s_add_u32 s0, s16, s14
	s_mov_b32 s14, 0xf0f0f10
	v_mul_hi_u32 v5, v0, s14
	s_addc_u32 s1, s17, s15
	s_load_dwordx2 s[0:1], s[0:1], 0x0
                                        ; implicit-def: $vgpr27
                                        ; implicit-def: $vgpr51
                                        ; implicit-def: $vgpr55
                                        ; implicit-def: $vgpr57
                                        ; implicit-def: $vgpr61
                                        ; implicit-def: $vgpr67
                                        ; implicit-def: $vgpr33
                                        ; implicit-def: $vgpr25
                                        ; implicit-def: $vgpr37
                                        ; implicit-def: $vgpr47
	v_mul_u32_u24_e32 v5, 17, v5
	v_sub_u32_e32 v74, v0, v5
	v_mad_u64_u32 v[5:6], s[14:15], s20, v74, 0
	s_waitcnt lgkmcnt(0)
	v_mul_lo_u32 v11, s1, v3
	v_mul_lo_u32 v12, s0, v4
	v_mad_u64_u32 v[7:8], s[0:1], s0, v3, 0
	v_mov_b32_e32 v0, v6
	v_mad_u64_u32 v[9:10], s[0:1], s21, v74, v[0:1]
	v_add3_u32 v8, v8, v12, v11
	v_lshlrev_b64 v[7:8], 3, v[7:8]
	v_mov_b32_e32 v0, s9
	v_add_co_u32_e64 v11, s[0:1], s8, v7
	v_add_u32_e32 v13, 25, v74
	v_mov_b32_e32 v6, v9
	v_addc_co_u32_e64 v12, s[0:1], v0, v8, s[0:1]
	v_mad_u64_u32 v[9:10], s[0:1], s20, v13, 0
	v_lshlrev_b64 v[7:8], 3, v[75:76]
	v_lshlrev_b64 v[5:6], 3, v[5:6]
	v_add_co_u32_e64 v0, s[0:1], v11, v7
	v_mov_b32_e32 v7, v10
	v_addc_co_u32_e64 v68, s[0:1], v12, v8, s[0:1]
	v_mad_u64_u32 v[7:8], s[0:1], s21, v13, v[7:8]
	v_add_u32_e32 v13, 50, v74
	v_mad_u64_u32 v[11:12], s[0:1], s20, v13, 0
	v_mov_b32_e32 v10, v7
	v_add_co_u32_e64 v5, s[0:1], v0, v5
	v_lshlrev_b64 v[7:8], 3, v[9:10]
	v_mov_b32_e32 v9, v12
	v_addc_co_u32_e64 v6, s[0:1], v68, v6, s[0:1]
	v_mad_u64_u32 v[9:10], s[0:1], s21, v13, v[9:10]
	v_add_u32_e32 v15, 0x4b, v74
	v_mad_u64_u32 v[13:14], s[0:1], s20, v15, 0
	v_mov_b32_e32 v12, v9
	v_add_co_u32_e64 v7, s[0:1], v0, v7
	v_lshlrev_b64 v[9:10], 3, v[11:12]
	v_mov_b32_e32 v11, v14
	v_addc_co_u32_e64 v8, s[0:1], v68, v8, s[0:1]
	v_mad_u64_u32 v[11:12], s[0:1], s21, v15, v[11:12]
	v_add_co_u32_e64 v9, s[0:1], v0, v9
	v_mov_b32_e32 v14, v11
	v_add_u32_e32 v15, 0x64, v74
	v_addc_co_u32_e64 v10, s[0:1], v68, v10, s[0:1]
	v_lshlrev_b64 v[11:12], 3, v[13:14]
	v_mad_u64_u32 v[13:14], s[0:1], s20, v15, 0
	v_add_co_u32_e64 v11, s[0:1], v0, v11
	v_addc_co_u32_e64 v12, s[0:1], v68, v12, s[0:1]
	v_mad_u64_u32 v[14:15], s[0:1], s21, v15, v[14:15]
	v_add_u32_e32 v17, 0x7d, v74
	v_mad_u64_u32 v[15:16], s[0:1], s20, v17, 0
	global_load_dwordx2 v[43:44], v[5:6], off
	global_load_dwordx2 v[53:54], v[7:8], off
	;; [unrolled: 1-line block ×4, first 2 shown]
	v_add_u32_e32 v12, 0x96, v74
	v_mov_b32_e32 v7, v16
	v_mad_u64_u32 v[7:8], s[0:1], s21, v17, v[7:8]
	v_mad_u64_u32 v[8:9], s[0:1], s20, v12, 0
	v_lshlrev_b64 v[5:6], 3, v[13:14]
	v_mov_b32_e32 v16, v7
	v_add_co_u32_e64 v5, s[0:1], v0, v5
	v_mov_b32_e32 v7, v9
	v_addc_co_u32_e64 v6, s[0:1], v68, v6, s[0:1]
	v_mad_u64_u32 v[12:13], s[0:1], s21, v12, v[7:8]
	v_add_u32_e32 v17, 0xaf, v74
	v_mad_u64_u32 v[13:14], s[0:1], s20, v17, 0
	v_lshlrev_b64 v[10:11], 3, v[15:16]
	v_mov_b32_e32 v9, v12
	v_add_co_u32_e64 v15, s[0:1], v0, v10
	v_lshlrev_b64 v[7:8], 3, v[8:9]
	v_mov_b32_e32 v9, v14
	v_addc_co_u32_e64 v16, s[0:1], v68, v11, s[0:1]
	v_mad_u64_u32 v[9:10], s[0:1], s21, v17, v[9:10]
	v_add_co_u32_e64 v7, s[0:1], v0, v7
	v_mov_b32_e32 v14, v9
	v_add_u32_e32 v12, 0xc8, v74
	v_addc_co_u32_e64 v8, s[0:1], v68, v8, s[0:1]
	v_lshlrev_b64 v[9:10], 3, v[13:14]
	v_mad_u64_u32 v[13:14], s[0:1], s20, v12, 0
	v_add_co_u32_e64 v9, s[0:1], v0, v9
	v_mov_b32_e32 v11, v14
	v_addc_co_u32_e64 v10, s[0:1], v68, v10, s[0:1]
	v_mad_u64_u32 v[17:18], s[0:1], s21, v12, v[11:12]
	v_add_u32_e32 v20, 0xe1, v74
	v_mad_u64_u32 v[18:19], s[0:1], s20, v20, 0
	global_load_dwordx2 v[39:40], v[5:6], off
	global_load_dwordx2 v[29:30], v[15:16], off
	;; [unrolled: 1-line block ×4, first 2 shown]
	v_add_u32_e32 v10, 0xfa, v74
	v_mov_b32_e32 v7, v19
	v_mad_u64_u32 v[7:8], s[0:1], s21, v20, v[7:8]
	v_mad_u64_u32 v[8:9], s[0:1], s20, v10, 0
	v_mov_b32_e32 v14, v17
	v_lshlrev_b64 v[5:6], 3, v[13:14]
	v_mov_b32_e32 v19, v7
	v_add_co_u32_e64 v5, s[0:1], v0, v5
	v_mov_b32_e32 v7, v9
	v_addc_co_u32_e64 v6, s[0:1], v68, v6, s[0:1]
	v_mad_u64_u32 v[9:10], s[0:1], s21, v10, v[7:8]
	v_add_u32_e32 v10, 0x113, v74
	v_mad_u64_u32 v[15:16], s[0:1], s20, v10, 0
	v_lshlrev_b64 v[13:14], 3, v[18:19]
	v_lshlrev_b64 v[7:8], 3, v[8:9]
	v_add_co_u32_e64 v13, s[0:1], v0, v13
	v_mov_b32_e32 v9, v16
	v_addc_co_u32_e64 v14, s[0:1], v68, v14, s[0:1]
	v_mad_u64_u32 v[9:10], s[0:1], s21, v10, v[9:10]
	v_add_co_u32_e64 v7, s[0:1], v0, v7
	v_mov_b32_e32 v16, v9
	v_add_u32_e32 v17, 0x12c, v74
	v_addc_co_u32_e64 v8, s[0:1], v68, v8, s[0:1]
	v_lshlrev_b64 v[9:10], 3, v[15:16]
	v_mad_u64_u32 v[15:16], s[0:1], s20, v17, 0
	v_add_co_u32_e64 v9, s[0:1], v0, v9
	v_addc_co_u32_e64 v10, s[0:1], v68, v10, s[0:1]
	v_mad_u64_u32 v[16:17], s[0:1], s21, v17, v[16:17]
	global_load_dwordx2 v[17:18], v[5:6], off
	global_load_dwordx2 v[31:32], v[13:14], off
	;; [unrolled: 1-line block ×4, first 2 shown]
	v_add_u32_e32 v23, 0x145, v74
	v_mad_u64_u32 v[19:20], s[0:1], s20, v23, 0
	v_add_u32_e32 v10, 0x15e, v74
	v_lshlrev_b64 v[5:6], 3, v[15:16]
	v_mov_b32_e32 v7, v20
	v_mad_u64_u32 v[7:8], s[0:1], s21, v23, v[7:8]
	v_mad_u64_u32 v[8:9], s[0:1], s20, v10, 0
	v_add_co_u32_e64 v5, s[0:1], v0, v5
	v_mov_b32_e32 v20, v7
	v_mov_b32_e32 v7, v9
	v_addc_co_u32_e64 v6, s[0:1], v68, v6, s[0:1]
	v_mad_u64_u32 v[9:10], s[0:1], s21, v10, v[7:8]
	v_add_u32_e32 v10, 0x177, v74
	v_mad_u64_u32 v[15:16], s[0:1], s20, v10, 0
	v_lshlrev_b64 v[13:14], 3, v[19:20]
	v_lshlrev_b64 v[7:8], 3, v[8:9]
	v_add_co_u32_e64 v13, s[0:1], v0, v13
	v_mov_b32_e32 v9, v16
	v_addc_co_u32_e64 v14, s[0:1], v68, v14, s[0:1]
	v_mad_u64_u32 v[9:10], s[0:1], s21, v10, v[9:10]
	v_add_co_u32_e64 v7, s[0:1], v0, v7
	v_mov_b32_e32 v16, v9
	v_add_u32_e32 v19, 0x190, v74
	v_addc_co_u32_e64 v8, s[0:1], v68, v8, s[0:1]
	v_lshlrev_b64 v[9:10], 3, v[15:16]
	v_mad_u64_u32 v[15:16], s[0:1], s20, v19, 0
	v_add_co_u32_e64 v9, s[0:1], v0, v9
	v_addc_co_u32_e64 v10, s[0:1], v68, v10, s[0:1]
	global_load_dwordx2 v[59:60], v[5:6], off
	global_load_dwordx2 v[63:64], v[13:14], off
	;; [unrolled: 1-line block ×4, first 2 shown]
	v_mov_b32_e32 v13, 0
	v_mov_b32_e32 v14, 0
                                        ; implicit-def: $vgpr9
                                        ; implicit-def: $vgpr7
                                        ; implicit-def: $vgpr23
	s_waitcnt vmcnt(7)
	v_mad_u64_u32 v[19:20], s[0:1], s21, v19, v[16:17]
	v_mov_b32_e32 v16, v19
	v_lshlrev_b64 v[5:6], 3, v[15:16]
                                        ; implicit-def: $vgpr19
                                        ; implicit-def: $vgpr15
	v_add_co_u32_e64 v5, s[0:1], v0, v5
	v_addc_co_u32_e64 v6, s[0:1], v68, v6, s[0:1]
	global_load_dwordx2 v[71:72], v[5:6], off
	v_cmp_gt_u32_e64 s[0:1], 8, v74
                                        ; implicit-def: $vgpr5
	s_and_saveexec_b64 s[8:9], s[0:1]
	s_cbranch_execz .LBB0_13
; %bb.12:
	v_add_u32_e32 v9, 17, v74
	v_add_u32_e32 v13, 42, v74
	v_mad_u64_u32 v[5:6], s[0:1], s20, v9, 0
	v_mad_u64_u32 v[7:8], s[0:1], s20, v13, 0
	v_add_u32_e32 v16, 0x5c, v74
	v_add_u32_e32 v23, 0x75, v74
	v_mad_u64_u32 v[9:10], s[0:1], s21, v9, v[6:7]
	v_add_u32_e32 v58, 0xf2, v74
	v_add_u32_e32 v67, 0x156, v74
	v_mov_b32_e32 v6, v9
	v_mad_u64_u32 v[8:9], s[0:1], s21, v13, v[8:9]
	v_add_u32_e32 v13, 0x43, v74
	v_mad_u64_u32 v[9:10], s[0:1], s20, v13, 0
	v_lshlrev_b64 v[5:6], 3, v[5:6]
	v_lshlrev_b64 v[7:8], 3, v[7:8]
	v_add_co_u32_e64 v5, s[0:1], v0, v5
	v_addc_co_u32_e64 v6, s[0:1], v68, v6, s[0:1]
	v_mad_u64_u32 v[13:14], s[0:1], s21, v13, v[10:11]
	v_mad_u64_u32 v[14:15], s[0:1], s20, v16, 0
	v_add_co_u32_e64 v7, s[0:1], v0, v7
	v_mov_b32_e32 v10, v13
	v_mov_b32_e32 v13, v15
	v_addc_co_u32_e64 v8, s[0:1], v68, v8, s[0:1]
	v_mad_u64_u32 v[15:16], s[0:1], s21, v16, v[13:14]
	v_lshlrev_b64 v[9:10], 3, v[9:10]
	v_add_co_u32_e64 v9, s[0:1], v0, v9
	v_addc_co_u32_e64 v10, s[0:1], v68, v10, s[0:1]
	v_lshlrev_b64 v[13:14], 3, v[14:15]
	v_mad_u64_u32 v[15:16], s[0:1], s20, v23, 0
	v_add_co_u32_e64 v19, s[0:1], v0, v13
	v_mov_b32_e32 v13, v16
	v_addc_co_u32_e64 v20, s[0:1], v68, v14, s[0:1]
	v_mad_u64_u32 v[23:24], s[0:1], s21, v23, v[13:14]
	v_add_u32_e32 v24, 0x8e, v74
	v_mad_u64_u32 v[27:28], s[0:1], s20, v24, 0
	global_load_dwordx2 v[13:14], v[5:6], off
	global_load_dwordx2 v[47:48], v[7:8], off
	;; [unrolled: 1-line block ×4, first 2 shown]
	v_add_u32_e32 v10, 0xa7, v74
	v_mov_b32_e32 v7, v28
	v_mad_u64_u32 v[7:8], s[0:1], s21, v24, v[7:8]
	v_mad_u64_u32 v[8:9], s[0:1], s20, v10, 0
	v_mov_b32_e32 v16, v23
	v_lshlrev_b64 v[5:6], 3, v[15:16]
	v_mov_b32_e32 v28, v7
	v_add_co_u32_e64 v5, s[0:1], v0, v5
	v_mov_b32_e32 v7, v9
	v_addc_co_u32_e64 v6, s[0:1], v68, v6, s[0:1]
	v_mad_u64_u32 v[9:10], s[0:1], s21, v10, v[7:8]
	v_or_b32_e32 v10, 0xc0, v74
	v_mad_u64_u32 v[19:20], s[0:1], s20, v10, 0
	v_lshlrev_b64 v[15:16], 3, v[27:28]
	v_lshlrev_b64 v[7:8], 3, v[8:9]
	v_add_co_u32_e64 v27, s[0:1], v0, v15
	v_mov_b32_e32 v9, v20
	v_addc_co_u32_e64 v28, s[0:1], v68, v16, s[0:1]
	v_mad_u64_u32 v[9:10], s[0:1], s21, v10, v[9:10]
	v_add_co_u32_e64 v51, s[0:1], v0, v7
	v_add_u32_e32 v15, 0xd9, v74
	v_addc_co_u32_e64 v52, s[0:1], v68, v8, s[0:1]
	v_mov_b32_e32 v20, v9
	v_mad_u64_u32 v[9:10], s[0:1], s20, v15, 0
	v_lshlrev_b64 v[7:8], 3, v[19:20]
	v_add_co_u32_e64 v19, s[0:1], v0, v7
	v_mov_b32_e32 v7, v10
	v_addc_co_u32_e64 v20, s[0:1], v68, v8, s[0:1]
	v_mad_u64_u32 v[55:56], s[0:1], s21, v15, v[7:8]
	v_mad_u64_u32 v[56:57], s[0:1], s20, v58, 0
	v_mov_b32_e32 v10, v55
	global_load_dwordx2 v[33:34], v[5:6], off
	global_load_dwordx2 v[23:24], v[27:28], off
	;; [unrolled: 1-line block ×4, first 2 shown]
	v_lshlrev_b64 v[5:6], 3, v[9:10]
	v_mov_b32_e32 v9, v57
	v_mad_u64_u32 v[9:10], s[0:1], s21, v58, v[9:10]
	v_add_u32_e32 v10, 0x10b, v74
	v_mad_u64_u32 v[19:20], s[0:1], s20, v10, 0
	v_add_co_u32_e64 v51, s[0:1], v0, v5
	v_mov_b32_e32 v57, v9
	v_mov_b32_e32 v9, v20
	v_addc_co_u32_e64 v52, s[0:1], v68, v6, s[0:1]
	v_mad_u64_u32 v[9:10], s[0:1], s21, v10, v[9:10]
	v_add_u32_e32 v10, 0x124, v74
	v_mad_u64_u32 v[27:28], s[0:1], s20, v10, 0
	v_lshlrev_b64 v[5:6], 3, v[56:57]
	v_mov_b32_e32 v20, v9
	v_add_co_u32_e64 v55, s[0:1], v0, v5
	v_mov_b32_e32 v9, v28
	v_addc_co_u32_e64 v56, s[0:1], v68, v6, s[0:1]
	v_mad_u64_u32 v[9:10], s[0:1], s21, v10, v[9:10]
	v_lshlrev_b64 v[5:6], 3, v[19:20]
	v_add_co_u32_e64 v57, s[0:1], v0, v5
	v_mov_b32_e32 v28, v9
	v_add_u32_e32 v9, 0x13d, v74
	v_addc_co_u32_e64 v58, s[0:1], v68, v6, s[0:1]
	v_mad_u64_u32 v[61:62], s[0:1], s20, v9, 0
	v_lshlrev_b64 v[5:6], 3, v[27:28]
	v_add_co_u32_e64 v75, s[0:1], v0, v5
	v_mov_b32_e32 v5, v62
	v_addc_co_u32_e64 v76, s[0:1], v68, v6, s[0:1]
	v_mad_u64_u32 v[77:78], s[0:1], s21, v9, v[5:6]
	v_mad_u64_u32 v[78:79], s[0:1], s20, v67, 0
	global_load_dwordx2 v[9:10], v[51:52], off
	global_load_dwordx2 v[5:6], v[55:56], off
	;; [unrolled: 1-line block ×4, first 2 shown]
	v_add_u32_e32 v58, 0x16f, v74
	v_mov_b32_e32 v55, v79
	v_mad_u64_u32 v[55:56], s[0:1], s21, v67, v[55:56]
	v_mad_u64_u32 v[56:57], s[0:1], s20, v58, 0
	v_mov_b32_e32 v62, v77
	v_lshlrev_b64 v[51:52], 3, v[61:62]
	v_mov_b32_e32 v79, v55
	v_add_co_u32_e64 v75, s[0:1], v0, v51
	v_mov_b32_e32 v55, v57
	v_addc_co_u32_e64 v76, s[0:1], v68, v52, s[0:1]
	v_mad_u64_u32 v[57:58], s[0:1], s21, v58, v[55:56]
	v_or_b32_e32 v58, 0x188, v74
	v_mad_u64_u32 v[61:62], s[0:1], s20, v58, 0
	v_lshlrev_b64 v[51:52], 3, v[78:79]
	v_add_co_u32_e64 v77, s[0:1], v0, v51
	v_mov_b32_e32 v55, v62
	v_addc_co_u32_e64 v78, s[0:1], v68, v52, s[0:1]
	v_lshlrev_b64 v[51:52], 3, v[56:57]
	v_mad_u64_u32 v[55:56], s[0:1], s21, v58, v[55:56]
	v_add_co_u32_e64 v79, s[0:1], v0, v51
	v_mov_b32_e32 v62, v55
	v_add_u32_e32 v55, 0x1a1, v74
	v_addc_co_u32_e64 v80, s[0:1], v68, v52, s[0:1]
	v_mad_u64_u32 v[81:82], s[0:1], s20, v55, 0
	v_lshlrev_b64 v[51:52], 3, v[61:62]
	v_add_co_u32_e64 v83, s[0:1], v0, v51
	v_mov_b32_e32 v51, v82
	v_addc_co_u32_e64 v84, s[0:1], v68, v52, s[0:1]
	v_mad_u64_u32 v[85:86], s[0:1], s21, v55, v[51:52]
	global_load_dwordx2 v[51:52], v[75:76], off
	global_load_dwordx2 v[55:56], v[77:78], off
	;; [unrolled: 1-line block ×4, first 2 shown]
	v_mov_b32_e32 v82, v85
	v_lshlrev_b64 v[75:76], 3, v[81:82]
	v_add_co_u32_e64 v67, s[0:1], v0, v75
	v_addc_co_u32_e64 v68, s[0:1], v68, v76, s[0:1]
	global_load_dwordx2 v[67:68], v[67:68], off
.LBB0_13:
	s_or_b64 exec, exec, s[8:9]
.LBB0_14:
	s_or_b64 exec, exec, s[6:7]
	s_mov_b32 s0, 0xaaaaaaab
	v_mul_hi_u32 v0, v73, s0
	v_add_f32_e32 v75, v43, v53
	v_add_f32_e32 v75, v75, v45
	v_add_f32_e32 v75, v75, v35
	v_lshrrev_b32_e32 v0, 1, v0
	v_lshl_add_u32 v0, v0, 1, v0
	v_sub_u32_e32 v0, v73, v0
	v_add_f32_e32 v73, v75, v39
	v_add_f32_e32 v73, v73, v29
	;; [unrolled: 1-line block ×5, first 2 shown]
	s_waitcnt vmcnt(7)
	v_add_f32_e32 v73, v73, v31
	s_waitcnt vmcnt(6)
	v_add_f32_e32 v73, v41, v73
	;; [unrolled: 2-line block ×8, first 2 shown]
	v_add_f32_e32 v73, v71, v53
	v_mul_f32_e32 v77, 0x3f6eb680, v73
	v_mul_f32_e32 v79, 0x3f3d2fb0, v73
	;; [unrolled: 1-line block ×8, first 2 shown]
	v_sub_f32_e32 v75, v54, v72
	v_mov_b32_e32 v78, v77
	v_mov_b32_e32 v80, v79
	;; [unrolled: 1-line block ×8, first 2 shown]
	v_fmac_f32_e32 v78, 0x3eb8f4ab, v75
	v_fmac_f32_e32 v77, 0xbeb8f4ab, v75
	;; [unrolled: 1-line block ×16, first 2 shown]
	v_add_f32_e32 v78, v78, v43
	v_add_f32_e32 v77, v77, v43
	v_add_f32_e32 v80, v80, v43
	v_add_f32_e32 v79, v79, v43
	v_add_f32_e32 v82, v82, v43
	v_add_f32_e32 v81, v81, v43
	v_add_f32_e32 v84, v84, v43
	v_add_f32_e32 v83, v83, v43
	v_add_f32_e32 v86, v86, v43
	v_add_f32_e32 v85, v85, v43
	v_add_f32_e32 v88, v88, v43
	v_add_f32_e32 v87, v87, v43
	v_add_f32_e32 v90, v90, v43
	v_add_f32_e32 v89, v89, v43
	v_add_f32_e32 v91, v91, v43
	v_add_f32_e32 v43, v73, v43
	v_add_f32_e32 v73, v69, v45
	v_sub_f32_e32 v75, v46, v70
	v_mul_f32_e32 v92, 0x3f3d2fb0, v73
	v_mov_b32_e32 v93, v92
	v_fmac_f32_e32 v92, 0xbf2c7751, v75
	v_fmac_f32_e32 v93, 0x3f2c7751, v75
	v_add_f32_e32 v77, v77, v92
	v_mul_f32_e32 v92, 0x3dbcf732, v73
	v_add_f32_e32 v78, v78, v93
	v_mov_b32_e32 v93, v92
	v_fmac_f32_e32 v92, 0xbf7ee86f, v75
	v_fmac_f32_e32 v93, 0x3f7ee86f, v75
	v_add_f32_e32 v79, v79, v92
	v_mul_f32_e32 v92, 0xbf1a4643, v73
	v_add_f32_e32 v80, v80, v93
	v_mov_b32_e32 v93, v92
	v_fmac_f32_e32 v92, 0xbf4c4adb, v75
	v_fmac_f32_e32 v93, 0x3f4c4adb, v75
	v_add_f32_e32 v81, v81, v92
	v_mul_f32_e32 v92, 0xbf7ba420, v73
	v_add_f32_e32 v82, v82, v93
	v_mov_b32_e32 v93, v92
	v_fmac_f32_e32 v92, 0xbe3c28d5, v75
	v_fmac_f32_e32 v93, 0x3e3c28d5, v75
	v_add_f32_e32 v83, v83, v92
	v_mul_f32_e32 v92, 0xbf59a7d5, v73
	v_add_f32_e32 v84, v84, v93
	v_mov_b32_e32 v93, v92
	v_fmac_f32_e32 v92, 0x3f06c442, v75
	v_fmac_f32_e32 v93, 0xbf06c442, v75
	v_add_f32_e32 v85, v85, v92
	v_mul_f32_e32 v92, 0xbe8c1d8e, v73
	v_add_f32_e32 v86, v86, v93
	v_mov_b32_e32 v93, v92
	v_fmac_f32_e32 v92, 0x3f763a35, v75
	v_fmac_f32_e32 v93, 0xbf763a35, v75
	v_add_f32_e32 v87, v87, v92
	v_mul_f32_e32 v92, 0x3ee437d1, v73
	v_add_f32_e32 v88, v88, v93
	v_mov_b32_e32 v93, v92
	v_fmac_f32_e32 v92, 0x3f65296c, v75
	v_mul_f32_e32 v73, 0x3f6eb680, v73
	v_add_f32_e32 v89, v89, v92
	v_mov_b32_e32 v92, v73
	v_fmac_f32_e32 v73, 0x3eb8f4ab, v75
	v_fmac_f32_e32 v92, 0xbeb8f4ab, v75
	v_add_f32_e32 v43, v43, v73
	v_add_f32_e32 v73, v65, v35
	v_fmac_f32_e32 v93, 0xbf65296c, v75
	v_add_f32_e32 v91, v91, v92
	v_sub_f32_e32 v75, v36, v66
	v_mul_f32_e32 v92, 0x3ee437d1, v73
	v_add_f32_e32 v90, v90, v93
	v_mov_b32_e32 v93, v92
	v_fmac_f32_e32 v92, 0xbf65296c, v75
	v_fmac_f32_e32 v93, 0x3f65296c, v75
	v_add_f32_e32 v77, v77, v92
	v_mul_f32_e32 v92, 0xbf1a4643, v73
	v_add_f32_e32 v78, v78, v93
	v_mov_b32_e32 v93, v92
	v_fmac_f32_e32 v92, 0xbf4c4adb, v75
	v_fmac_f32_e32 v93, 0x3f4c4adb, v75
	v_add_f32_e32 v79, v79, v92
	v_mul_f32_e32 v92, 0xbf7ba420, v73
	v_add_f32_e32 v80, v80, v93
	v_mov_b32_e32 v93, v92
	v_fmac_f32_e32 v92, 0x3e3c28d5, v75
	v_fmac_f32_e32 v93, 0xbe3c28d5, v75
	v_add_f32_e32 v81, v81, v92
	v_mul_f32_e32 v92, 0xbe8c1d8e, v73
	v_add_f32_e32 v82, v82, v93
	v_mov_b32_e32 v93, v92
	v_fmac_f32_e32 v92, 0x3f763a35, v75
	v_fmac_f32_e32 v93, 0xbf763a35, v75
	v_add_f32_e32 v83, v83, v92
	v_mul_f32_e32 v92, 0x3f3d2fb0, v73
	v_add_f32_e32 v84, v84, v93
	v_mov_b32_e32 v93, v92
	v_fmac_f32_e32 v92, 0x3f2c7751, v75
	v_fmac_f32_e32 v93, 0xbf2c7751, v75
	v_add_f32_e32 v85, v85, v92
	v_mul_f32_e32 v92, 0x3f6eb680, v73
	v_add_f32_e32 v86, v86, v93
	v_mov_b32_e32 v93, v92
	v_fmac_f32_e32 v92, 0xbeb8f4ab, v75
	v_fmac_f32_e32 v93, 0x3eb8f4ab, v75
	v_add_f32_e32 v87, v87, v92
	v_mul_f32_e32 v92, 0x3dbcf732, v73
	v_add_f32_e32 v88, v88, v93
	v_mov_b32_e32 v93, v92
	v_fmac_f32_e32 v92, 0xbf7ee86f, v75
	v_mul_f32_e32 v73, 0xbf59a7d5, v73
	v_add_f32_e32 v89, v89, v92
	v_mov_b32_e32 v92, v73
	v_fmac_f32_e32 v73, 0xbf06c442, v75
	v_fmac_f32_e32 v92, 0x3f06c442, v75
	v_add_f32_e32 v43, v43, v73
	v_add_f32_e32 v73, v63, v39
	v_fmac_f32_e32 v93, 0x3f7ee86f, v75
	v_add_f32_e32 v91, v91, v92
	v_sub_f32_e32 v75, v40, v64
	v_mul_f32_e32 v92, 0x3dbcf732, v73
	v_add_f32_e32 v90, v90, v93
	;; [unrolled: 50-line block ×6, first 2 shown]
	v_mov_b32_e32 v93, v92
	v_fmac_f32_e32 v92, 0xbe3c28d5, v75
	v_fmac_f32_e32 v93, 0x3e3c28d5, v75
	v_add_f32_e32 v77, v77, v92
	v_mul_f32_e32 v92, 0x3f6eb680, v73
	v_add_f32_e32 v78, v78, v93
	v_mov_b32_e32 v93, v92
	v_fmac_f32_e32 v92, 0x3eb8f4ab, v75
	v_fmac_f32_e32 v93, 0xbeb8f4ab, v75
	v_add_f32_e32 v79, v79, v92
	v_mul_f32_e32 v92, 0xbf59a7d5, v73
	v_add_f32_e32 v80, v80, v93
	;; [unrolled: 6-line block ×6, first 2 shown]
	v_mov_b32_e32 v93, v92
	v_fmac_f32_e32 v92, 0xbf763a35, v75
	v_mul_f32_e32 v73, 0x3dbcf732, v73
	v_mul_u32_u24_e32 v0, 0x1a9, v0
	v_add_f32_e32 v89, v89, v92
	v_mov_b32_e32 v92, v73
	v_fmac_f32_e32 v73, 0x3f7ee86f, v75
	v_fmac_f32_e32 v93, 0x3f763a35, v75
	;; [unrolled: 1-line block ×3, first 2 shown]
	v_add_f32_e32 v43, v43, v73
	v_mul_u32_u24_e32 v75, 0x44, v74
	v_lshlrev_b32_e32 v73, 2, v0
	s_mov_b32 s15, 0x3f6eb680
	s_mov_b32 s14, 0x3f3d2fb0
	;; [unrolled: 1-line block ×8, first 2 shown]
	v_add3_u32 v75, 0, v75, v73
	v_add_u32_e32 v0, 17, v74
	v_cmp_gt_u32_e64 s[0:1], 8, v74
	v_add_f32_e32 v90, v90, v93
	v_add_f32_e32 v91, v91, v92
	ds_write2_b32 v75, v76, v78 offset1:1
	ds_write2_b32 v75, v80, v82 offset0:2 offset1:3
	ds_write2_b32 v75, v84, v86 offset0:4 offset1:5
	;; [unrolled: 1-line block ×7, first 2 shown]
	ds_write_b32 v75, v77 offset:64
	s_and_saveexec_b64 s[6:7], s[0:1]
	s_cbranch_execz .LBB0_16
; %bb.15:
	v_sub_f32_e32 v76, v48, v68
	v_mul_f32_e32 v77, 0xbe3c28d5, v76
	v_sub_f32_e32 v80, v38, v62
	v_add_f32_e32 v43, v47, v67
	v_mov_b32_e32 v78, v77
	v_mul_f32_e32 v81, 0x3eb8f4ab, v80
	v_fmac_f32_e32 v78, 0xbf7ba420, v43
	v_add_f32_e32 v79, v37, v61
	v_mov_b32_e32 v82, v81
	v_sub_f32_e32 v83, v26, v58
	v_add_f32_e32 v78, v13, v78
	v_fmac_f32_e32 v82, 0x3f6eb680, v79
	v_mul_f32_e32 v84, 0xbf06c442, v83
	v_add_f32_e32 v78, v78, v82
	v_add_f32_e32 v82, v25, v57
	v_mov_b32_e32 v85, v84
	v_sub_f32_e32 v86, v34, v56
	v_fmac_f32_e32 v85, 0xbf59a7d5, v82
	v_mul_f32_e32 v87, 0x3f2c7751, v86
	v_add_f32_e32 v78, v78, v85
	v_add_f32_e32 v85, v33, v55
	v_mov_b32_e32 v88, v87
	v_sub_f32_e32 v89, v24, v52
	;; [unrolled: 6-line block ×3, first 2 shown]
	v_fma_f32 v77, v43, s19, -v77
	v_fmac_f32_e32 v91, 0xbf1a4643, v88
	v_mul_f32_e32 v93, 0x3f65296c, v92
	v_add_f32_e32 v77, v13, v77
	v_fma_f32 v81, v79, s15, -v81
	v_add_f32_e32 v78, v78, v91
	v_add_f32_e32 v91, v15, v27
	v_mov_b32_e32 v94, v93
	v_sub_f32_e32 v95, v8, v20
	v_add_f32_e32 v77, v77, v81
	v_fma_f32 v81, v82, s18, -v84
	v_fmac_f32_e32 v94, 0x3ee437d1, v91
	v_mul_f32_e32 v96, 0xbf763a35, v95
	v_add_f32_e32 v77, v77, v81
	v_fma_f32 v81, v85, s14, -v87
	v_add_f32_e32 v78, v78, v94
	v_add_f32_e32 v94, v7, v19
	v_mov_b32_e32 v97, v96
	v_add_f32_e32 v77, v77, v81
	v_fma_f32 v81, v88, s17, -v90
	v_fmac_f32_e32 v97, 0xbe8c1d8e, v94
	v_sub_f32_e32 v98, v10, v6
	v_add_f32_e32 v77, v77, v81
	v_fma_f32 v81, v91, s9, -v93
	v_add_f32_e32 v78, v78, v97
	v_add_f32_e32 v97, v9, v5
	v_mul_f32_e32 v99, 0x3f7ee86f, v98
	v_add_f32_e32 v77, v77, v81
	v_fma_f32 v81, v94, s16, -v96
	v_add_f32_e32 v77, v77, v81
	v_fma_f32 v81, v97, s8, -v99
	v_add_f32_e32 v77, v77, v81
	v_mul_f32_e32 v81, 0xbf06c442, v76
	v_mov_b32_e32 v84, v81
	v_mul_f32_e32 v87, 0x3f65296c, v80
	v_fmac_f32_e32 v84, 0xbf59a7d5, v43
	v_mov_b32_e32 v90, v87
	v_add_f32_e32 v84, v13, v84
	v_fmac_f32_e32 v90, 0x3ee437d1, v79
	v_add_f32_e32 v84, v84, v90
	v_mul_f32_e32 v90, 0xbf7ee86f, v83
	v_mov_b32_e32 v93, v90
	v_fmac_f32_e32 v93, 0x3dbcf732, v82
	v_add_f32_e32 v84, v84, v93
	v_mul_f32_e32 v93, 0x3f4c4adb, v86
	v_mov_b32_e32 v96, v93
	v_fmac_f32_e32 v96, 0xbf1a4643, v85
	v_add_f32_e32 v84, v84, v96
	v_mul_f32_e32 v96, 0xbeb8f4ab, v89
	v_mov_b32_e32 v100, v99
	v_mov_b32_e32 v99, v96
	v_fmac_f32_e32 v99, 0x3f6eb680, v88
	v_fmac_f32_e32 v100, 0x3dbcf732, v97
	v_add_f32_e32 v84, v84, v99
	v_mul_f32_e32 v99, 0xbe3c28d5, v92
	v_fma_f32 v81, v43, s18, -v81
	v_add_f32_e32 v78, v78, v100
	v_mov_b32_e32 v100, v99
	v_add_f32_e32 v81, v13, v81
	v_fma_f32 v87, v79, s9, -v87
	v_fmac_f32_e32 v100, 0xbf7ba420, v91
	v_add_f32_e32 v81, v81, v87
	v_fma_f32 v87, v82, s8, -v90
	v_add_f32_e32 v84, v84, v100
	v_mul_f32_e32 v100, 0x3f2c7751, v95
	v_add_f32_e32 v81, v81, v87
	v_fma_f32 v87, v85, s17, -v93
	v_mov_b32_e32 v101, v100
	v_add_f32_e32 v81, v81, v87
	v_fma_f32 v87, v88, s15, -v96
	v_fmac_f32_e32 v101, 0x3f3d2fb0, v94
	v_add_f32_e32 v81, v81, v87
	v_fma_f32 v87, v91, s19, -v99
	v_add_f32_e32 v84, v84, v101
	v_mul_f32_e32 v101, 0xbf763a35, v98
	v_add_f32_e32 v81, v81, v87
	v_fma_f32 v87, v94, s14, -v100
	v_add_f32_e32 v81, v81, v87
	v_fma_f32 v87, v97, s16, -v101
	v_add_f32_e32 v81, v81, v87
	v_mul_f32_e32 v87, 0xbf4c4adb, v76
	v_mov_b32_e32 v90, v87
	v_mul_f32_e32 v93, 0x3f763a35, v80
	v_fmac_f32_e32 v90, 0xbf1a4643, v43
	v_mov_b32_e32 v96, v93
	v_add_f32_e32 v90, v13, v90
	v_fmac_f32_e32 v96, 0xbe8c1d8e, v79
	v_add_f32_e32 v90, v90, v96
	v_mul_f32_e32 v96, 0xbeb8f4ab, v83
	v_mov_b32_e32 v99, v96
	v_fmac_f32_e32 v99, 0x3f6eb680, v82
	v_add_f32_e32 v90, v90, v99
	v_mul_f32_e32 v99, 0xbf06c442, v86
	v_mov_b32_e32 v100, v99
	v_fmac_f32_e32 v100, 0xbf59a7d5, v85
	v_add_f32_e32 v90, v90, v100
	v_mul_f32_e32 v100, 0x3f7ee86f, v89
	v_mov_b32_e32 v102, v101
	v_mov_b32_e32 v101, v100
	v_fmac_f32_e32 v101, 0x3dbcf732, v88
	v_fmac_f32_e32 v102, 0xbe8c1d8e, v97
	v_add_f32_e32 v90, v90, v101
	v_mul_f32_e32 v101, 0xbf2c7751, v92
	v_fma_f32 v87, v43, s17, -v87
	v_add_f32_e32 v84, v84, v102
	v_mov_b32_e32 v102, v101
	v_add_f32_e32 v87, v13, v87
	v_fma_f32 v93, v79, s16, -v93
	v_fmac_f32_e32 v102, 0x3f3d2fb0, v91
	v_add_f32_e32 v87, v87, v93
	v_fma_f32 v93, v82, s15, -v96
	v_add_f32_e32 v90, v90, v102
	v_mul_f32_e32 v102, 0xbe3c28d5, v95
	v_add_f32_e32 v87, v87, v93
	v_fma_f32 v93, v85, s18, -v99
	v_mov_b32_e32 v103, v102
	v_add_f32_e32 v87, v87, v93
	v_fma_f32 v93, v88, s8, -v100
	v_fmac_f32_e32 v103, 0xbf7ba420, v94
	v_add_f32_e32 v87, v87, v93
	v_fma_f32 v93, v91, s14, -v101
	v_add_f32_e32 v90, v90, v103
	v_mul_f32_e32 v103, 0x3f65296c, v98
	v_add_f32_e32 v87, v87, v93
	v_fma_f32 v93, v94, s19, -v102
	v_add_f32_e32 v87, v87, v93
	v_fma_f32 v93, v97, s9, -v103
	v_add_f32_e32 v87, v87, v93
	v_mul_f32_e32 v93, 0xbf763a35, v76
	v_mov_b32_e32 v96, v93
	v_mul_f32_e32 v99, 0x3f06c442, v80
	v_fmac_f32_e32 v96, 0xbe8c1d8e, v43
	v_mov_b32_e32 v100, v99
	v_add_f32_e32 v96, v13, v96
	v_fmac_f32_e32 v100, 0xbf59a7d5, v79
	v_add_f32_e32 v96, v96, v100
	v_mul_f32_e32 v100, 0x3f2c7751, v83
	v_mov_b32_e32 v101, v100
	v_fmac_f32_e32 v101, 0x3f3d2fb0, v82
	v_add_f32_e32 v96, v96, v101
	v_mul_f32_e32 v101, 0xbf65296c, v86
	v_mov_b32_e32 v102, v101
	v_fmac_f32_e32 v102, 0x3ee437d1, v85
	v_add_f32_e32 v96, v96, v102
	v_mul_f32_e32 v102, 0xbe3c28d5, v89
	v_mov_b32_e32 v104, v103
	v_mov_b32_e32 v103, v102
	v_fmac_f32_e32 v103, 0xbf7ba420, v88
	v_fmac_f32_e32 v104, 0x3ee437d1, v97
	v_add_f32_e32 v96, v96, v103
	v_mul_f32_e32 v103, 0x3f7ee86f, v92
	v_fma_f32 v93, v43, s16, -v93
	v_add_f32_e32 v90, v90, v104
	v_mov_b32_e32 v104, v103
	v_add_f32_e32 v93, v13, v93
	v_fma_f32 v99, v79, s18, -v99
	v_fmac_f32_e32 v104, 0x3dbcf732, v91
	v_add_f32_e32 v93, v93, v99
	v_fma_f32 v99, v82, s14, -v100
	v_add_f32_e32 v96, v96, v104
	v_mul_f32_e32 v104, 0xbeb8f4ab, v95
	v_add_f32_e32 v93, v93, v99
	v_fma_f32 v99, v85, s9, -v101
	v_mov_b32_e32 v105, v104
	v_add_f32_e32 v93, v93, v99
	v_fma_f32 v99, v88, s19, -v102
	v_fmac_f32_e32 v105, 0x3f6eb680, v94
	v_add_f32_e32 v93, v93, v99
	v_fma_f32 v99, v91, s8, -v103
	v_add_f32_e32 v96, v96, v105
	v_mul_f32_e32 v105, 0xbf4c4adb, v98
	v_add_f32_e32 v93, v93, v99
	v_fma_f32 v99, v94, s15, -v104
	v_add_f32_e32 v93, v93, v99
	v_fma_f32 v99, v97, s17, -v105
	v_add_f32_e32 v93, v93, v99
	v_mul_f32_e32 v99, 0xbf7ee86f, v76
	v_mov_b32_e32 v100, v99
	v_mul_f32_e32 v101, 0xbe3c28d5, v80
	v_fmac_f32_e32 v100, 0x3dbcf732, v43
	v_mov_b32_e32 v102, v101
	v_add_f32_e32 v100, v13, v100
	v_fmac_f32_e32 v102, 0xbf7ba420, v79
	v_add_f32_e32 v100, v100, v102
	v_mul_f32_e32 v102, 0x3f763a35, v83
	v_mov_b32_e32 v103, v102
	v_fmac_f32_e32 v103, 0xbe8c1d8e, v82
	v_add_f32_e32 v100, v100, v103
	v_mul_f32_e32 v103, 0x3eb8f4ab, v86
	v_mov_b32_e32 v104, v103
	v_fmac_f32_e32 v104, 0x3f6eb680, v85
	v_add_f32_e32 v100, v100, v104
	v_mul_f32_e32 v104, 0xbf65296c, v89
	v_mov_b32_e32 v106, v105
	v_mov_b32_e32 v105, v104
	v_fmac_f32_e32 v105, 0x3ee437d1, v88
	v_fmac_f32_e32 v106, 0xbf1a4643, v97
	v_add_f32_e32 v100, v100, v105
	v_mul_f32_e32 v105, 0xbf06c442, v92
	v_fma_f32 v99, v43, s8, -v99
	v_add_f32_e32 v96, v96, v106
	v_mov_b32_e32 v106, v105
	v_add_f32_e32 v99, v13, v99
	v_fma_f32 v101, v79, s19, -v101
	v_fmac_f32_e32 v106, 0xbf59a7d5, v91
	v_add_f32_e32 v99, v99, v101
	v_fma_f32 v101, v82, s16, -v102
	v_add_f32_e32 v100, v100, v106
	v_mul_f32_e32 v106, 0x3f4c4adb, v95
	v_add_f32_e32 v99, v99, v101
	v_fma_f32 v101, v85, s15, -v103
	v_mov_b32_e32 v107, v106
	v_add_f32_e32 v99, v99, v101
	v_fma_f32 v101, v88, s9, -v104
	v_fmac_f32_e32 v107, 0xbf1a4643, v94
	v_add_f32_e32 v99, v99, v101
	v_fma_f32 v101, v91, s18, -v105
	v_add_f32_e32 v100, v100, v107
	v_mul_f32_e32 v107, 0x3f2c7751, v98
	v_add_f32_e32 v99, v99, v101
	v_fma_f32 v101, v94, s17, -v106
	v_add_f32_e32 v99, v99, v101
	v_fma_f32 v101, v97, s14, -v107
	v_add_f32_e32 v99, v99, v101
	v_mul_f32_e32 v101, 0xbf65296c, v76
	v_mov_b32_e32 v102, v101
	v_mul_f32_e32 v103, 0xbf4c4adb, v80
	v_fmac_f32_e32 v102, 0x3ee437d1, v43
	v_mov_b32_e32 v104, v103
	v_add_f32_e32 v102, v13, v102
	v_fmac_f32_e32 v104, 0xbf1a4643, v79
	v_add_f32_e32 v102, v102, v104
	v_mul_f32_e32 v104, 0x3e3c28d5, v83
	v_mov_b32_e32 v105, v104
	v_fmac_f32_e32 v105, 0xbf7ba420, v82
	v_add_f32_e32 v102, v102, v105
	v_mul_f32_e32 v105, 0x3f763a35, v86
	v_mov_b32_e32 v106, v105
	v_fmac_f32_e32 v106, 0xbe8c1d8e, v85
	v_add_f32_e32 v102, v102, v106
	v_mul_f32_e32 v106, 0x3f2c7751, v89
	v_mov_b32_e32 v108, v107
	v_mov_b32_e32 v107, v106
	v_fmac_f32_e32 v107, 0x3f3d2fb0, v88
	v_fmac_f32_e32 v108, 0x3f3d2fb0, v97
	v_add_f32_e32 v102, v102, v107
	v_mul_f32_e32 v107, 0xbeb8f4ab, v92
	v_fma_f32 v101, v43, s9, -v101
	v_add_f32_e32 v100, v100, v108
	v_mov_b32_e32 v108, v107
	v_add_f32_e32 v101, v13, v101
	v_fma_f32 v103, v79, s17, -v103
	v_fmac_f32_e32 v108, 0x3f6eb680, v91
	v_add_f32_e32 v101, v101, v103
	v_fma_f32 v103, v82, s19, -v104
	v_add_f32_e32 v102, v102, v108
	v_mul_f32_e32 v108, 0xbf7ee86f, v95
	v_add_f32_e32 v101, v101, v103
	v_fma_f32 v103, v85, s16, -v105
	v_mov_b32_e32 v109, v108
	v_add_f32_e32 v101, v101, v103
	v_fma_f32 v103, v88, s14, -v106
	v_fmac_f32_e32 v109, 0x3dbcf732, v94
	v_add_f32_e32 v101, v101, v103
	v_fma_f32 v103, v91, s15, -v107
	v_add_f32_e32 v102, v102, v109
	v_mul_f32_e32 v109, 0xbf06c442, v98
	v_add_f32_e32 v101, v101, v103
	v_fma_f32 v103, v94, s8, -v108
	v_add_f32_e32 v101, v101, v103
	v_fma_f32 v103, v97, s18, -v109
	v_add_f32_e32 v101, v101, v103
	v_mul_f32_e32 v103, 0xbf2c7751, v76
	v_mov_b32_e32 v104, v103
	v_mul_f32_e32 v105, 0xbf7ee86f, v80
	v_fmac_f32_e32 v104, 0x3f3d2fb0, v43
	v_mov_b32_e32 v106, v105
	v_add_f32_e32 v104, v13, v104
	v_fmac_f32_e32 v106, 0x3dbcf732, v79
	v_add_f32_e32 v104, v104, v106
	v_mul_f32_e32 v106, 0xbf4c4adb, v83
	v_mov_b32_e32 v107, v106
	v_fmac_f32_e32 v107, 0xbf1a4643, v82
	v_add_f32_e32 v104, v104, v107
	v_mul_f32_e32 v107, 0xbe3c28d5, v86
	v_mov_b32_e32 v108, v107
	v_fmac_f32_e32 v108, 0xbf7ba420, v85
	v_add_f32_e32 v104, v104, v108
	v_mul_f32_e32 v108, 0x3f06c442, v89
	v_mov_b32_e32 v110, v109
	v_mov_b32_e32 v109, v108
	v_fmac_f32_e32 v109, 0xbf59a7d5, v88
	v_fmac_f32_e32 v110, 0xbf59a7d5, v97
	v_add_f32_e32 v104, v104, v109
	v_mul_f32_e32 v109, 0x3f763a35, v92
	v_fma_f32 v103, v43, s14, -v103
	v_add_f32_e32 v102, v102, v110
	v_mov_b32_e32 v110, v109
	v_add_f32_e32 v103, v13, v103
	v_fma_f32 v105, v79, s8, -v105
	v_fmac_f32_e32 v110, 0xbe8c1d8e, v91
	v_add_f32_e32 v103, v103, v105
	v_fma_f32 v105, v82, s17, -v106
	v_add_f32_e32 v104, v104, v110
	v_mul_f32_e32 v110, 0x3f65296c, v95
	v_add_f32_e32 v103, v103, v105
	v_fma_f32 v105, v85, s19, -v107
	v_mov_b32_e32 v111, v110
	v_add_f32_e32 v103, v103, v105
	v_fma_f32 v105, v88, s18, -v108
	v_fmac_f32_e32 v111, 0x3ee437d1, v94
	v_add_f32_e32 v103, v103, v105
	v_fma_f32 v105, v91, s16, -v109
	v_add_f32_e32 v104, v104, v111
	v_mul_f32_e32 v111, 0x3eb8f4ab, v98
	v_add_f32_e32 v103, v103, v105
	v_fma_f32 v105, v94, s9, -v110
	v_add_f32_e32 v103, v103, v105
	v_fma_f32 v105, v97, s15, -v111
	v_mul_f32_e32 v76, 0xbeb8f4ab, v76
	v_add_f32_e32 v103, v103, v105
	v_mov_b32_e32 v105, v76
	v_fmac_f32_e32 v105, 0x3f6eb680, v43
	v_fma_f32 v43, v43, s15, -v76
	v_add_f32_e32 v105, v13, v105
	v_add_f32_e32 v43, v13, v43
	;; [unrolled: 1-line block ×3, first 2 shown]
	v_mul_f32_e32 v80, 0xbf2c7751, v80
	v_add_f32_e32 v13, v13, v37
	v_mov_b32_e32 v106, v80
	v_add_f32_e32 v13, v13, v25
	v_fmac_f32_e32 v106, 0x3f3d2fb0, v79
	v_mul_f32_e32 v83, 0xbf65296c, v83
	v_add_f32_e32 v13, v13, v33
	v_add_f32_e32 v105, v105, v106
	v_mov_b32_e32 v106, v83
	v_add_f32_e32 v13, v13, v23
	v_fmac_f32_e32 v106, 0x3ee437d1, v82
	v_mul_f32_e32 v86, 0xbf7ee86f, v86
	v_add_f32_e32 v13, v13, v15
	v_add_f32_e32 v105, v105, v106
	v_mov_b32_e32 v106, v86
	v_add_f32_e32 v13, v13, v7
	v_fmac_f32_e32 v106, 0x3dbcf732, v85
	v_mul_f32_e32 v89, 0xbf763a35, v89
	v_fma_f32 v76, v79, s14, -v80
	v_add_f32_e32 v13, v13, v9
	v_add_f32_e32 v105, v105, v106
	v_mov_b32_e32 v106, v89
	v_add_f32_e32 v43, v43, v76
	v_fma_f32 v76, v82, s9, -v83
	v_add_f32_e32 v13, v13, v5
	v_fmac_f32_e32 v106, 0xbe8c1d8e, v88
	v_mul_f32_e32 v92, 0xbf4c4adb, v92
	v_add_f32_e32 v43, v43, v76
	v_fma_f32 v76, v85, s8, -v86
	v_add_f32_e32 v13, v19, v13
	v_add_f32_e32 v105, v105, v106
	v_mov_b32_e32 v106, v92
	v_add_f32_e32 v43, v43, v76
	v_fma_f32 v76, v88, s16, -v89
	v_add_f32_e32 v13, v27, v13
	v_fmac_f32_e32 v106, 0xbf1a4643, v91
	v_mul_f32_e32 v95, 0xbf06c442, v95
	v_add_f32_e32 v43, v43, v76
	v_fma_f32 v76, v91, s17, -v92
	v_add_f32_e32 v13, v51, v13
	v_add_f32_e32 v105, v105, v106
	v_mov_b32_e32 v106, v95
	v_mul_f32_e32 v98, 0xbe3c28d5, v98
	v_add_f32_e32 v43, v43, v76
	v_fma_f32 v76, v94, s18, -v95
	v_add_f32_e32 v13, v55, v13
	v_fmac_f32_e32 v106, 0xbf59a7d5, v94
	v_add_f32_e32 v43, v43, v76
	v_fma_f32 v76, v97, s19, -v98
	v_add_f32_e32 v13, v57, v13
	v_mov_b32_e32 v112, v111
	v_add_f32_e32 v105, v105, v106
	v_mov_b32_e32 v106, v98
	v_add_f32_e32 v43, v43, v76
	v_add_f32_e32 v13, v61, v13
	v_mul_u32_u24_e32 v76, 0x44, v0
	v_fmac_f32_e32 v112, 0x3f6eb680, v97
	v_fmac_f32_e32 v106, 0xbf7ba420, v97
	v_add_f32_e32 v13, v67, v13
	v_add3_u32 v76, 0, v76, v73
	v_add_f32_e32 v104, v104, v112
	v_add_f32_e32 v105, v105, v106
	ds_write2_b32 v76, v13, v43 offset1:1
	ds_write2_b32 v76, v103, v101 offset0:2 offset1:3
	ds_write2_b32 v76, v99, v93 offset0:4 offset1:5
	;; [unrolled: 1-line block ×7, first 2 shown]
	ds_write_b32 v76, v105 offset:64
.LBB0_16:
	s_or_b64 exec, exec, s[6:7]
	v_add_f32_e32 v13, v44, v54
	v_add_f32_e32 v13, v13, v46
	;; [unrolled: 1-line block ×14, first 2 shown]
	v_sub_f32_e32 v43, v53, v71
	v_add_f32_e32 v13, v70, v13
	v_mul_f32_e32 v53, 0xbeb8f4ab, v43
	v_mul_f32_e32 v71, 0xbf2c7751, v43
	;; [unrolled: 1-line block ×8, first 2 shown]
	v_add_f32_e32 v76, v72, v13
	v_add_f32_e32 v13, v72, v54
	v_mov_b32_e32 v54, v53
	v_mov_b32_e32 v72, v71
	;; [unrolled: 1-line block ×8, first 2 shown]
	v_fmac_f32_e32 v54, 0x3f6eb680, v13
	v_fma_f32 v53, v13, s15, -v53
	v_fmac_f32_e32 v72, 0x3f3d2fb0, v13
	v_fma_f32 v71, v13, s14, -v71
	;; [unrolled: 2-line block ×8, first 2 shown]
	v_add_f32_e32 v54, v54, v44
	v_add_f32_e32 v53, v53, v44
	;; [unrolled: 1-line block ×16, first 2 shown]
	v_sub_f32_e32 v44, v45, v69
	v_add_f32_e32 v43, v70, v46
	v_mul_f32_e32 v45, 0xbf2c7751, v44
	v_mov_b32_e32 v46, v45
	v_fma_f32 v45, v43, s14, -v45
	v_fmac_f32_e32 v46, 0x3f3d2fb0, v43
	v_add_f32_e32 v45, v53, v45
	v_mul_f32_e32 v53, 0xbf7ee86f, v44
	v_add_f32_e32 v46, v54, v46
	v_mov_b32_e32 v54, v53
	v_fma_f32 v53, v43, s8, -v53
	v_mul_f32_e32 v69, 0xbf4c4adb, v44
	v_fmac_f32_e32 v54, 0x3dbcf732, v43
	v_add_f32_e32 v53, v71, v53
	v_mov_b32_e32 v70, v69
	v_fma_f32 v69, v43, s17, -v69
	v_mul_f32_e32 v71, 0xbe3c28d5, v44
	v_add_f32_e32 v54, v72, v54
	v_fmac_f32_e32 v70, 0xbf1a4643, v43
	v_add_f32_e32 v69, v77, v69
	v_mov_b32_e32 v72, v71
	v_fma_f32 v71, v43, s19, -v71
	v_mul_f32_e32 v77, 0x3f06c442, v44
	v_add_f32_e32 v70, v78, v70
	;; [unrolled: 6-line block ×3, first 2 shown]
	v_fmac_f32_e32 v78, 0xbf59a7d5, v43
	v_add_f32_e32 v77, v81, v77
	v_mov_b32_e32 v80, v79
	v_fma_f32 v79, v43, s16, -v79
	v_mul_f32_e32 v81, 0x3f65296c, v44
	v_mul_f32_e32 v44, 0x3eb8f4ab, v44
	v_add_f32_e32 v78, v82, v78
	v_add_f32_e32 v79, v83, v79
	v_mov_b32_e32 v82, v81
	v_mov_b32_e32 v83, v44
	v_fmac_f32_e32 v80, 0xbe8c1d8e, v43
	v_fmac_f32_e32 v82, 0x3ee437d1, v43
	v_fma_f32 v81, v43, s9, -v81
	v_fmac_f32_e32 v83, 0x3f6eb680, v43
	v_fma_f32 v43, v43, s15, -v44
	v_sub_f32_e32 v35, v35, v65
	v_add_f32_e32 v13, v13, v43
	v_add_f32_e32 v36, v66, v36
	v_mul_f32_e32 v43, 0xbf65296c, v35
	v_mov_b32_e32 v44, v43
	v_fma_f32 v43, v36, s9, -v43
	v_fmac_f32_e32 v44, 0x3ee437d1, v36
	v_add_f32_e32 v43, v45, v43
	v_mul_f32_e32 v45, 0xbf4c4adb, v35
	v_add_f32_e32 v44, v46, v44
	v_mov_b32_e32 v46, v45
	v_fma_f32 v45, v36, s17, -v45
	v_fmac_f32_e32 v46, 0xbf1a4643, v36
	v_add_f32_e32 v45, v53, v45
	v_mul_f32_e32 v53, 0x3e3c28d5, v35
	v_add_f32_e32 v46, v54, v46
	v_mov_b32_e32 v54, v53
	v_fma_f32 v53, v36, s19, -v53
	v_mul_f32_e32 v65, 0x3f763a35, v35
	v_fmac_f32_e32 v54, 0xbf7ba420, v36
	v_add_f32_e32 v53, v69, v53
	v_mov_b32_e32 v66, v65
	v_fma_f32 v65, v36, s16, -v65
	v_mul_f32_e32 v69, 0x3f2c7751, v35
	v_add_f32_e32 v54, v70, v54
	v_fmac_f32_e32 v66, 0xbe8c1d8e, v36
	v_add_f32_e32 v65, v71, v65
	v_mov_b32_e32 v70, v69
	v_fma_f32 v69, v36, s14, -v69
	v_mul_f32_e32 v71, 0xbeb8f4ab, v35
	v_add_f32_e32 v66, v72, v66
	v_fmac_f32_e32 v70, 0x3f3d2fb0, v36
	v_add_f32_e32 v69, v77, v69
	v_mov_b32_e32 v72, v71
	v_fma_f32 v71, v36, s15, -v71
	v_mul_f32_e32 v77, 0xbf7ee86f, v35
	v_mul_f32_e32 v35, 0xbf06c442, v35
	v_add_f32_e32 v70, v78, v70
	v_add_f32_e32 v71, v79, v71
	v_mov_b32_e32 v78, v77
	v_mov_b32_e32 v79, v35
	v_fmac_f32_e32 v72, 0x3f6eb680, v36
	v_fmac_f32_e32 v78, 0x3dbcf732, v36
	v_fma_f32 v77, v36, s8, -v77
	v_fmac_f32_e32 v79, 0xbf59a7d5, v36
	v_fma_f32 v35, v36, s18, -v35
	v_sub_f32_e32 v36, v39, v63
	v_add_f32_e32 v13, v13, v35
	v_add_f32_e32 v35, v64, v40
	v_mul_f32_e32 v39, 0xbf7ee86f, v36
	v_mov_b32_e32 v40, v39
	v_fma_f32 v39, v35, s8, -v39
	v_fmac_f32_e32 v40, 0x3dbcf732, v35
	v_add_f32_e32 v39, v43, v39
	v_mul_f32_e32 v43, 0xbe3c28d5, v36
	v_add_f32_e32 v40, v44, v40
	v_mov_b32_e32 v44, v43
	v_fma_f32 v43, v35, s19, -v43
	v_fmac_f32_e32 v44, 0xbf7ba420, v35
	v_add_f32_e32 v43, v45, v43
	v_mul_f32_e32 v45, 0x3f763a35, v36
	v_add_f32_e32 v44, v46, v44
	;; [unrolled: 6-line block ×3, first 2 shown]
	v_mov_b32_e32 v54, v53
	v_fma_f32 v53, v35, s15, -v53
	v_mul_f32_e32 v63, 0xbf65296c, v36
	v_fmac_f32_e32 v54, 0x3f6eb680, v35
	v_add_f32_e32 v53, v65, v53
	v_mov_b32_e32 v64, v63
	v_fma_f32 v63, v35, s9, -v63
	v_mul_f32_e32 v65, 0xbf06c442, v36
	v_add_f32_e32 v54, v66, v54
	v_fmac_f32_e32 v64, 0x3ee437d1, v35
	v_add_f32_e32 v63, v69, v63
	v_mov_b32_e32 v66, v65
	v_fma_f32 v65, v35, s18, -v65
	v_mul_f32_e32 v69, 0x3f4c4adb, v36
	v_mul_f32_e32 v36, 0x3f2c7751, v36
	v_add_f32_e32 v64, v70, v64
	v_add_f32_e32 v65, v71, v65
	v_mov_b32_e32 v70, v69
	v_mov_b32_e32 v71, v36
	v_fmac_f32_e32 v66, 0xbf59a7d5, v35
	v_fmac_f32_e32 v70, 0xbf1a4643, v35
	v_fma_f32 v69, v35, s17, -v69
	v_fmac_f32_e32 v71, 0x3f3d2fb0, v35
	v_fma_f32 v35, v35, s14, -v36
	v_sub_f32_e32 v29, v29, v59
	v_add_f32_e32 v13, v13, v35
	v_add_f32_e32 v30, v60, v30
	v_mul_f32_e32 v35, 0xbf763a35, v29
	v_mov_b32_e32 v36, v35
	v_fma_f32 v35, v30, s16, -v35
	v_fmac_f32_e32 v36, 0xbe8c1d8e, v30
	v_add_f32_e32 v35, v39, v35
	v_mul_f32_e32 v39, 0x3f06c442, v29
	v_add_f32_e32 v36, v40, v36
	v_mov_b32_e32 v40, v39
	v_fma_f32 v39, v30, s18, -v39
	v_fmac_f32_e32 v40, 0xbf59a7d5, v30
	v_add_f32_e32 v39, v43, v39
	v_mul_f32_e32 v43, 0x3f2c7751, v29
	v_add_f32_e32 v40, v44, v40
	;; [unrolled: 6-line block ×4, first 2 shown]
	v_mov_b32_e32 v54, v53
	v_fma_f32 v53, v30, s19, -v53
	v_mul_f32_e32 v59, 0x3f7ee86f, v29
	v_add_f32_e32 v53, v63, v53
	v_mov_b32_e32 v60, v59
	v_fma_f32 v59, v30, s8, -v59
	v_mul_f32_e32 v63, 0xbeb8f4ab, v29
	v_mul_f32_e32 v29, 0xbf4c4adb, v29
	v_fmac_f32_e32 v54, 0xbf7ba420, v30
	v_add_f32_e32 v59, v65, v59
	v_mov_b32_e32 v65, v29
	v_fma_f32 v29, v30, s17, -v29
	v_sub_f32_e32 v21, v21, v49
	v_add_f32_e32 v54, v64, v54
	v_mov_b32_e32 v64, v63
	v_add_f32_e32 v13, v13, v29
	v_add_f32_e32 v22, v50, v22
	v_mul_f32_e32 v29, 0xbf4c4adb, v21
	v_fmac_f32_e32 v60, 0x3dbcf732, v30
	v_fmac_f32_e32 v64, 0x3f6eb680, v30
	v_fma_f32 v63, v30, s15, -v63
	v_fmac_f32_e32 v65, 0xbf1a4643, v30
	v_mov_b32_e32 v30, v29
	v_fma_f32 v29, v22, s17, -v29
	v_fmac_f32_e32 v30, 0xbf1a4643, v22
	v_add_f32_e32 v29, v35, v29
	v_mul_f32_e32 v35, 0x3f763a35, v21
	v_add_f32_e32 v30, v36, v30
	v_mov_b32_e32 v36, v35
	v_fma_f32 v35, v22, s16, -v35
	v_fmac_f32_e32 v36, 0xbe8c1d8e, v22
	v_add_f32_e32 v35, v39, v35
	v_mul_f32_e32 v39, 0xbeb8f4ab, v21
	v_add_f32_e32 v36, v40, v36
	;; [unrolled: 6-line block ×4, first 2 shown]
	v_mov_b32_e32 v46, v45
	v_fma_f32 v45, v22, s8, -v45
	v_mul_f32_e32 v49, 0xbf2c7751, v21
	v_add_f32_e32 v45, v53, v45
	v_mov_b32_e32 v50, v49
	v_fma_f32 v49, v22, s14, -v49
	v_mul_f32_e32 v53, 0xbe3c28d5, v21
	v_mul_f32_e32 v21, 0x3f65296c, v21
	v_fmac_f32_e32 v46, 0x3dbcf732, v22
	v_add_f32_e32 v49, v59, v49
	v_mov_b32_e32 v59, v21
	v_fma_f32 v21, v22, s9, -v21
	v_sub_f32_e32 v11, v11, v41
	v_add_f32_e32 v46, v54, v46
	v_mov_b32_e32 v54, v53
	v_add_f32_e32 v13, v13, v21
	v_add_f32_e32 v12, v42, v12
	v_mul_f32_e32 v21, 0xbf06c442, v11
	v_fmac_f32_e32 v50, 0x3f3d2fb0, v22
	v_fmac_f32_e32 v54, 0xbf7ba420, v22
	v_fma_f32 v53, v22, s19, -v53
	v_fmac_f32_e32 v59, 0x3ee437d1, v22
	v_mov_b32_e32 v22, v21
	v_fma_f32 v21, v12, s18, -v21
	v_fmac_f32_e32 v22, 0xbf59a7d5, v12
	v_add_f32_e32 v21, v29, v21
	v_mul_f32_e32 v29, 0x3f65296c, v11
	v_add_f32_e32 v22, v30, v22
	v_mov_b32_e32 v30, v29
	v_fma_f32 v29, v12, s9, -v29
	v_fmac_f32_e32 v30, 0x3ee437d1, v12
	v_add_f32_e32 v29, v35, v29
	v_mul_f32_e32 v35, 0xbf7ee86f, v11
	v_add_f32_e32 v30, v36, v30
	;; [unrolled: 6-line block ×3, first 2 shown]
	v_mov_b32_e32 v40, v39
	v_fma_f32 v39, v12, s17, -v39
	v_mul_f32_e32 v41, 0xbeb8f4ab, v11
	v_fmac_f32_e32 v40, 0xbf1a4643, v12
	v_add_f32_e32 v39, v43, v39
	v_mov_b32_e32 v42, v41
	v_fma_f32 v41, v12, s15, -v41
	v_mul_f32_e32 v43, 0xbe3c28d5, v11
	v_add_f32_e32 v40, v44, v40
	v_add_f32_e32 v41, v45, v41
	v_mov_b32_e32 v44, v43
	v_fma_f32 v43, v12, s19, -v43
	v_mul_f32_e32 v45, 0x3f2c7751, v11
	v_mul_f32_e32 v11, 0xbf763a35, v11
	v_fmac_f32_e32 v42, 0x3f6eb680, v12
	v_add_f32_e32 v43, v49, v43
	v_mov_b32_e32 v49, v11
	v_fma_f32 v11, v12, s16, -v11
	v_add_f32_e32 v82, v86, v82
	v_add_f32_e32 v42, v46, v42
	v_mov_b32_e32 v46, v45
	v_add_f32_e32 v11, v13, v11
	v_sub_f32_e32 v13, v17, v31
	v_add_f32_e32 v81, v85, v81
	v_add_f32_e32 v78, v82, v78
	v_fmac_f32_e32 v44, 0xbf7ba420, v12
	v_fmac_f32_e32 v46, 0x3f3d2fb0, v12
	v_fma_f32 v45, v12, s14, -v45
	v_fmac_f32_e32 v49, 0xbe8c1d8e, v12
	v_add_f32_e32 v12, v32, v18
	v_mul_f32_e32 v17, 0xbe3c28d5, v13
	v_add_f32_e32 v77, v81, v77
	v_add_f32_e32 v70, v78, v70
	v_mov_b32_e32 v18, v17
	v_fma_f32 v17, v12, s19, -v17
	v_add_f32_e32 v80, v84, v80
	v_add_f32_e32 v83, v87, v83
	;; [unrolled: 1-line block ×4, first 2 shown]
	v_fmac_f32_e32 v18, 0xbf7ba420, v12
	v_add_f32_e32 v70, v21, v17
	v_mul_f32_e32 v17, 0x3eb8f4ab, v13
	v_add_f32_e32 v72, v80, v72
	v_add_f32_e32 v79, v83, v79
	;; [unrolled: 1-line block ×4, first 2 shown]
	v_mov_b32_e32 v18, v17
	v_fma_f32 v17, v12, s15, -v17
	v_add_f32_e32 v66, v72, v66
	v_add_f32_e32 v71, v79, v71
	v_fmac_f32_e32 v18, 0x3f6eb680, v12
	v_add_f32_e32 v72, v29, v17
	v_mul_f32_e32 v17, 0xbf06c442, v13
	v_add_f32_e32 v65, v71, v65
	v_add_f32_e32 v71, v30, v18
	v_mov_b32_e32 v18, v17
	v_fma_f32 v17, v12, s18, -v17
	v_fmac_f32_e32 v18, 0xbf59a7d5, v12
	v_add_f32_e32 v78, v35, v17
	v_mul_f32_e32 v17, 0x3f2c7751, v13
	v_add_f32_e32 v77, v36, v18
	v_mov_b32_e32 v18, v17
	v_fma_f32 v17, v12, s14, -v17
	v_fmac_f32_e32 v18, 0x3f3d2fb0, v12
	v_add_f32_e32 v80, v39, v17
	v_mul_f32_e32 v17, 0xbf4c4adb, v13
	v_add_f32_e32 v79, v40, v18
	v_mov_b32_e32 v18, v17
	v_fma_f32 v17, v12, s17, -v17
	v_add_f32_e32 v60, v66, v60
	v_fmac_f32_e32 v18, 0xbf1a4643, v12
	v_add_f32_e32 v82, v41, v17
	v_mul_f32_e32 v17, 0x3f65296c, v13
	v_add_f32_e32 v50, v60, v50
	v_add_f32_e32 v81, v42, v18
	v_mov_b32_e32 v18, v17
	v_fma_f32 v17, v12, s9, -v17
	v_add_f32_e32 v53, v63, v53
	v_add_f32_e32 v44, v50, v44
	v_fmac_f32_e32 v18, 0x3ee437d1, v12
	v_add_f32_e32 v84, v43, v17
	v_mul_f32_e32 v17, 0xbf763a35, v13
	v_add_f32_e32 v45, v53, v45
	v_add_f32_e32 v83, v44, v18
	v_mov_b32_e32 v18, v17
	v_fma_f32 v17, v12, s16, -v17
	v_mul_f32_e32 v13, 0x3f7ee86f, v13
	v_add_f32_e32 v86, v45, v17
	v_mov_b32_e32 v17, v13
	v_fmac_f32_e32 v18, 0xbe8c1d8e, v12
	v_fmac_f32_e32 v17, 0x3dbcf732, v12
	v_fma_f32 v12, v12, s8, -v13
	v_add_f32_e32 v12, v11, v12
	v_lshlrev_b32_e32 v11, 2, v74
	v_add_f32_e32 v54, v64, v54
	v_add_f32_e32 v59, v65, v59
	v_add3_u32 v64, 0, v11, v73
	v_add_f32_e32 v46, v54, v46
	v_add_f32_e32 v49, v59, v49
	v_add3_u32 v63, 0, v73, v11
	v_add_u32_e32 v65, 0x200, v64
	v_add_u32_e32 v13, 0x400, v64
	v_add_f32_e32 v85, v46, v18
	v_add_f32_e32 v87, v49, v17
	s_waitcnt lgkmcnt(0)
	; wave barrier
	s_waitcnt lgkmcnt(0)
	ds_read_b32 v66, v63
	ds_read2_b32 v[59:60], v64 offset0:85 offset1:102
	ds_read2_b32 v[35:36], v64 offset0:153 offset1:170
	;; [unrolled: 1-line block ×12, first 2 shown]
	s_waitcnt lgkmcnt(0)
	; wave barrier
	s_waitcnt lgkmcnt(0)
	ds_write2_b32 v75, v76, v69 offset1:1
	ds_write2_b32 v75, v71, v77 offset0:2 offset1:3
	ds_write2_b32 v75, v79, v81 offset0:4 offset1:5
	;; [unrolled: 1-line block ×7, first 2 shown]
	ds_write_b32 v75, v70 offset:64
	s_and_saveexec_b64 s[6:7], s[0:1]
	s_cbranch_execz .LBB0_18
; %bb.17:
	v_add_f32_e32 v12, v14, v48
	v_add_f32_e32 v12, v12, v38
	;; [unrolled: 1-line block ×13, first 2 shown]
	v_sub_f32_e32 v47, v47, v67
	v_add_f32_e32 v12, v58, v12
	v_mul_f32_e32 v67, 0xbeb8f4ab, v47
	v_mul_f32_e32 v69, 0xbf2c7751, v47
	;; [unrolled: 1-line block ×8, first 2 shown]
	v_add_f32_e32 v12, v62, v12
	v_add_f32_e32 v48, v48, v68
	s_mov_b32 s14, 0x3f6eb680
	s_mov_b32 s8, 0x3f3d2fb0
	;; [unrolled: 1-line block ×8, first 2 shown]
	v_mov_b32_e32 v83, v47
	v_add_f32_e32 v12, v68, v12
	v_fma_f32 v68, v48, s14, -v67
	v_fmac_f32_e32 v67, 0x3f6eb680, v48
	v_fma_f32 v70, v48, s8, -v69
	v_fmac_f32_e32 v69, 0x3f3d2fb0, v48
	v_fma_f32 v72, v48, s1, -v71
	v_fmac_f32_e32 v71, 0x3ee437d1, v48
	v_fma_f32 v76, v48, s0, -v75
	v_fmac_f32_e32 v75, 0x3dbcf732, v48
	v_fma_f32 v78, v48, s9, -v77
	v_fmac_f32_e32 v77, 0xbe8c1d8e, v48
	v_fma_f32 v80, v48, s15, -v79
	v_fmac_f32_e32 v79, 0xbf1a4643, v48
	v_fma_f32 v82, v48, s16, -v81
	v_fmac_f32_e32 v81, 0xbf59a7d5, v48
	v_fmac_f32_e32 v83, 0xbf7ba420, v48
	v_fma_f32 v47, v48, s17, -v47
	v_sub_f32_e32 v37, v37, v61
	v_add_f32_e32 v67, v14, v67
	v_add_f32_e32 v68, v14, v68
	;; [unrolled: 1-line block ×17, first 2 shown]
	v_mul_f32_e32 v47, 0xbf2c7751, v37
	v_fma_f32 v48, v38, s8, -v47
	v_fmac_f32_e32 v47, 0x3f3d2fb0, v38
	v_mul_f32_e32 v61, 0xbf7ee86f, v37
	v_add_f32_e32 v47, v67, v47
	v_fma_f32 v62, v38, s0, -v61
	v_fmac_f32_e32 v61, 0x3dbcf732, v38
	v_mul_f32_e32 v67, 0xbf4c4adb, v37
	v_add_f32_e32 v48, v68, v48
	v_add_f32_e32 v61, v69, v61
	v_fma_f32 v68, v38, s15, -v67
	v_fmac_f32_e32 v67, 0xbf1a4643, v38
	v_mul_f32_e32 v69, 0xbe3c28d5, v37
	v_add_f32_e32 v62, v70, v62
	;; [unrolled: 5-line block ×4, first 2 shown]
	v_add_f32_e32 v71, v77, v71
	v_fma_f32 v76, v38, s9, -v75
	v_fmac_f32_e32 v75, 0xbe8c1d8e, v38
	v_mul_f32_e32 v77, 0x3f65296c, v37
	v_mul_f32_e32 v37, 0x3eb8f4ab, v37
	v_add_f32_e32 v75, v79, v75
	v_mov_b32_e32 v79, v37
	v_fma_f32 v37, v38, s14, -v37
	v_sub_f32_e32 v25, v25, v57
	v_add_f32_e32 v14, v14, v37
	v_add_f32_e32 v26, v26, v58
	v_mul_f32_e32 v37, 0xbf65296c, v25
	v_add_f32_e32 v72, v78, v72
	v_fma_f32 v78, v38, s1, -v77
	v_fmac_f32_e32 v77, 0x3ee437d1, v38
	v_fmac_f32_e32 v79, 0x3f6eb680, v38
	v_fma_f32 v38, v26, s1, -v37
	v_fmac_f32_e32 v37, 0x3ee437d1, v26
	v_add_f32_e32 v37, v47, v37
	v_mul_f32_e32 v47, 0xbf4c4adb, v25
	v_add_f32_e32 v38, v48, v38
	v_fma_f32 v48, v26, s15, -v47
	v_fmac_f32_e32 v47, 0xbf1a4643, v26
	v_mul_f32_e32 v57, 0x3e3c28d5, v25
	v_add_f32_e32 v47, v61, v47
	v_fma_f32 v58, v26, s17, -v57
	v_fmac_f32_e32 v57, 0xbf7ba420, v26
	v_mul_f32_e32 v61, 0x3f763a35, v25
	v_add_f32_e32 v48, v62, v48
	v_add_f32_e32 v57, v67, v57
	v_fma_f32 v62, v26, s9, -v61
	v_fmac_f32_e32 v61, 0xbe8c1d8e, v26
	v_mul_f32_e32 v67, 0x3f2c7751, v25
	v_add_f32_e32 v58, v68, v58
	v_add_f32_e32 v61, v69, v61
	v_fma_f32 v68, v26, s8, -v67
	v_fmac_f32_e32 v67, 0x3f3d2fb0, v26
	v_mul_f32_e32 v69, 0xbeb8f4ab, v25
	v_add_f32_e32 v62, v70, v62
	v_add_f32_e32 v67, v71, v67
	v_fma_f32 v70, v26, s14, -v69
	v_fmac_f32_e32 v69, 0x3f6eb680, v26
	v_mul_f32_e32 v71, 0xbf7ee86f, v25
	v_mul_f32_e32 v25, 0xbf06c442, v25
	v_add_f32_e32 v69, v75, v69
	v_mov_b32_e32 v75, v25
	v_add_f32_e32 v68, v72, v68
	v_fma_f32 v72, v26, s0, -v71
	v_fmac_f32_e32 v71, 0x3dbcf732, v26
	v_fmac_f32_e32 v75, 0xbf59a7d5, v26
	v_fma_f32 v25, v26, s16, -v25
	v_sub_f32_e32 v26, v33, v55
	v_add_f32_e32 v14, v14, v25
	v_add_f32_e32 v25, v34, v56
	v_mul_f32_e32 v33, 0xbf7ee86f, v26
	v_fma_f32 v34, v25, s0, -v33
	v_fmac_f32_e32 v33, 0x3dbcf732, v25
	v_add_f32_e32 v33, v37, v33
	v_mul_f32_e32 v37, 0xbe3c28d5, v26
	v_add_f32_e32 v34, v38, v34
	v_fma_f32 v38, v25, s17, -v37
	v_fmac_f32_e32 v37, 0xbf7ba420, v25
	v_add_f32_e32 v37, v47, v37
	v_mul_f32_e32 v47, 0x3f763a35, v26
	v_add_f32_e32 v38, v48, v38
	v_fma_f32 v48, v25, s9, -v47
	v_fmac_f32_e32 v47, 0xbe8c1d8e, v25
	v_mul_f32_e32 v55, 0x3eb8f4ab, v26
	v_add_f32_e32 v47, v57, v47
	v_fma_f32 v56, v25, s14, -v55
	v_fmac_f32_e32 v55, 0x3f6eb680, v25
	v_mul_f32_e32 v57, 0xbf65296c, v26
	v_add_f32_e32 v48, v58, v48
	v_add_f32_e32 v55, v61, v55
	v_fma_f32 v58, v25, s1, -v57
	v_fmac_f32_e32 v57, 0x3ee437d1, v25
	v_mul_f32_e32 v61, 0xbf06c442, v26
	v_add_f32_e32 v56, v62, v56
	v_add_f32_e32 v57, v67, v57
	v_fma_f32 v62, v25, s16, -v61
	v_fmac_f32_e32 v61, 0xbf59a7d5, v25
	v_mul_f32_e32 v67, 0x3f4c4adb, v26
	v_mul_f32_e32 v26, 0x3f2c7751, v26
	v_add_f32_e32 v61, v69, v61
	v_mov_b32_e32 v69, v26
	v_add_f32_e32 v58, v68, v58
	v_fma_f32 v68, v25, s15, -v67
	v_fmac_f32_e32 v67, 0xbf1a4643, v25
	v_fmac_f32_e32 v69, 0x3f3d2fb0, v25
	v_fma_f32 v25, v25, s8, -v26
	v_sub_f32_e32 v23, v23, v51
	v_add_f32_e32 v14, v14, v25
	v_add_f32_e32 v24, v24, v52
	v_mul_f32_e32 v25, 0xbf763a35, v23
	v_fma_f32 v26, v24, s9, -v25
	v_fmac_f32_e32 v25, 0xbe8c1d8e, v24
	v_add_f32_e32 v25, v33, v25
	v_mul_f32_e32 v33, 0x3f06c442, v23
	v_add_f32_e32 v26, v34, v26
	v_fma_f32 v34, v24, s16, -v33
	v_fmac_f32_e32 v33, 0xbf59a7d5, v24
	v_add_f32_e32 v33, v37, v33
	v_mul_f32_e32 v37, 0x3f2c7751, v23
	v_add_f32_e32 v34, v38, v34
	;; [unrolled: 5-line block ×3, first 2 shown]
	v_fma_f32 v48, v24, s1, -v47
	v_fmac_f32_e32 v47, 0x3ee437d1, v24
	v_mul_f32_e32 v51, 0xbe3c28d5, v23
	v_add_f32_e32 v47, v55, v47
	v_fma_f32 v52, v24, s17, -v51
	v_fmac_f32_e32 v51, 0xbf7ba420, v24
	v_mul_f32_e32 v55, 0x3f7ee86f, v23
	v_add_f32_e32 v48, v56, v48
	v_add_f32_e32 v51, v57, v51
	v_fma_f32 v56, v24, s0, -v55
	v_fmac_f32_e32 v55, 0x3dbcf732, v24
	v_mul_f32_e32 v57, 0xbeb8f4ab, v23
	v_mul_f32_e32 v23, 0xbf4c4adb, v23
	v_add_f32_e32 v55, v61, v55
	v_mov_b32_e32 v61, v23
	v_fma_f32 v23, v24, s15, -v23
	v_sub_f32_e32 v15, v15, v27
	v_add_f32_e32 v14, v14, v23
	v_add_f32_e32 v16, v16, v28
	v_mul_f32_e32 v23, 0xbf4c4adb, v15
	v_add_f32_e32 v52, v58, v52
	v_fma_f32 v58, v24, s14, -v57
	v_fmac_f32_e32 v57, 0x3f6eb680, v24
	v_fmac_f32_e32 v61, 0xbf1a4643, v24
	v_fma_f32 v24, v16, s15, -v23
	v_fmac_f32_e32 v23, 0xbf1a4643, v16
	v_add_f32_e32 v23, v25, v23
	v_mul_f32_e32 v25, 0x3f763a35, v15
	v_add_f32_e32 v24, v26, v24
	v_fma_f32 v26, v16, s9, -v25
	v_fmac_f32_e32 v25, 0xbe8c1d8e, v16
	v_mul_f32_e32 v27, 0xbeb8f4ab, v15
	v_add_f32_e32 v25, v33, v25
	v_fma_f32 v28, v16, s14, -v27
	v_fmac_f32_e32 v27, 0x3f6eb680, v16
	v_mul_f32_e32 v33, 0xbf06c442, v15
	v_add_f32_e32 v26, v34, v26
	v_add_f32_e32 v27, v37, v27
	v_fma_f32 v34, v16, s16, -v33
	v_fmac_f32_e32 v33, 0xbf59a7d5, v16
	v_mul_f32_e32 v37, 0x3f7ee86f, v15
	v_add_f32_e32 v28, v38, v28
	;; [unrolled: 5-line block ×3, first 2 shown]
	v_add_f32_e32 v37, v51, v37
	v_fma_f32 v48, v16, s8, -v47
	v_fmac_f32_e32 v47, 0x3f3d2fb0, v16
	v_mul_f32_e32 v51, 0xbe3c28d5, v15
	v_mul_f32_e32 v15, 0x3f65296c, v15
	v_add_f32_e32 v47, v55, v47
	v_mov_b32_e32 v55, v15
	v_fma_f32 v15, v16, s1, -v15
	v_sub_f32_e32 v7, v7, v19
	v_add_f32_e32 v14, v14, v15
	v_add_f32_e32 v8, v8, v20
	v_mul_f32_e32 v15, 0xbf06c442, v7
	v_add_f32_e32 v38, v52, v38
	v_fma_f32 v52, v16, s17, -v51
	v_fmac_f32_e32 v51, 0xbf7ba420, v16
	v_fmac_f32_e32 v55, 0x3ee437d1, v16
	v_fma_f32 v16, v8, s16, -v15
	v_fmac_f32_e32 v15, 0xbf59a7d5, v8
	v_mul_f32_e32 v19, 0x3f65296c, v7
	v_add_f32_e32 v15, v23, v15
	v_fma_f32 v20, v8, s1, -v19
	v_fmac_f32_e32 v19, 0x3ee437d1, v8
	v_mul_f32_e32 v23, 0xbf7ee86f, v7
	v_add_f32_e32 v16, v24, v16
	v_add_f32_e32 v19, v25, v19
	v_fma_f32 v24, v8, s0, -v23
	v_fmac_f32_e32 v23, 0x3dbcf732, v8
	v_mul_f32_e32 v25, 0x3f4c4adb, v7
	v_add_f32_e32 v20, v26, v20
	;; [unrolled: 5-line block ×4, first 2 shown]
	v_add_f32_e32 v27, v37, v27
	v_fma_f32 v34, v8, s17, -v33
	v_fmac_f32_e32 v33, 0xbf7ba420, v8
	v_mul_f32_e32 v37, 0x3f2c7751, v7
	v_mul_f32_e32 v7, 0xbf763a35, v7
	v_add_f32_e32 v33, v47, v33
	v_mov_b32_e32 v47, v7
	v_sub_f32_e32 v5, v9, v5
	v_add_f32_e32 v28, v38, v28
	v_fma_f32 v38, v8, s8, -v37
	v_fmac_f32_e32 v37, 0x3f3d2fb0, v8
	v_fmac_f32_e32 v47, 0xbe8c1d8e, v8
	v_fma_f32 v7, v8, s9, -v7
	v_add_f32_e32 v6, v10, v6
	v_mul_f32_e32 v8, 0xbe3c28d5, v5
	v_fma_f32 v9, v6, s17, -v8
	v_fmac_f32_e32 v8, 0xbf7ba420, v6
	v_mul_f32_e32 v10, 0x3eb8f4ab, v5
	v_add_f32_e32 v7, v14, v7
	v_add_f32_e32 v8, v15, v8
	v_fma_f32 v14, v6, s14, -v10
	v_fmac_f32_e32 v10, 0x3f6eb680, v6
	v_mul_f32_e32 v15, 0xbf06c442, v5
	v_add_f32_e32 v9, v16, v9
	v_add_f32_e32 v10, v19, v10
	;; [unrolled: 5-line block ×3, first 2 shown]
	v_add_f32_e32 v78, v82, v78
	v_add_f32_e32 v79, v83, v79
	;; [unrolled: 1-line block ×4, first 2 shown]
	v_fma_f32 v20, v6, s8, -v19
	v_fmac_f32_e32 v19, 0x3f3d2fb0, v6
	v_mul_f32_e32 v23, 0xbf4c4adb, v5
	v_add_f32_e32 v70, v76, v70
	v_add_f32_e32 v71, v77, v71
	;; [unrolled: 1-line block ×6, first 2 shown]
	v_fma_f32 v24, v6, s15, -v23
	v_fmac_f32_e32 v23, 0xbf1a4643, v6
	v_mul_f32_e32 v25, 0x3f65296c, v5
	v_add_f32_e32 v62, v70, v62
	v_add_f32_e32 v67, v71, v67
	;; [unrolled: 1-line block ×6, first 2 shown]
	v_fma_f32 v26, v6, s1, -v25
	v_fmac_f32_e32 v25, 0x3ee437d1, v6
	v_mul_f32_e32 v27, 0xbf763a35, v5
	v_mul_f32_e32 v5, 0x3f7ee86f, v5
	v_add_f32_e32 v56, v62, v56
	v_add_f32_e32 v57, v67, v57
	;; [unrolled: 1-line block ×5, first 2 shown]
	v_mov_b32_e32 v33, v5
	v_add_f32_e32 v48, v56, v48
	v_add_f32_e32 v51, v57, v51
	;; [unrolled: 1-line block ×5, first 2 shown]
	v_fma_f32 v28, v6, s9, -v27
	v_fmac_f32_e32 v27, 0xbe8c1d8e, v6
	v_fmac_f32_e32 v33, 0x3dbcf732, v6
	v_fma_f32 v5, v6, s0, -v5
	v_mul_u32_u24_e32 v6, 0x44, v0
	v_add_f32_e32 v34, v48, v34
	v_add_f32_e32 v37, v51, v37
	;; [unrolled: 1-line block ×4, first 2 shown]
	v_add3_u32 v6, 0, v6, v73
	v_add_f32_e32 v26, v34, v26
	v_add_f32_e32 v27, v37, v27
	;; [unrolled: 1-line block ×5, first 2 shown]
	ds_write2_b32 v6, v12, v8 offset1:1
	ds_write2_b32 v6, v10, v15 offset0:2 offset1:3
	ds_write2_b32 v6, v19, v23 offset0:4 offset1:5
	;; [unrolled: 1-line block ×7, first 2 shown]
	ds_write_b32 v6, v9 offset:64
.LBB0_18:
	s_or_b64 exec, exec, s[6:7]
	v_mov_b32_e32 v12, 0
	v_lshlrev_b64 v[5:6], 3, v[11:12]
	v_mov_b32_e32 v7, s13
	v_add_co_u32_e64 v5, s[0:1], s12, v5
	v_addc_co_u32_e64 v6, s[0:1], v7, v6, s[0:1]
	v_add_u32_e32 v15, 34, v74
	s_movk_i32 s0, 0xf1
	v_mul_lo_u16_sdwa v8, v15, s0 dst_sel:DWORD dst_unused:UNUSED_PAD src0_sel:BYTE_0 src1_sel:DWORD
	v_lshrrev_b16_e32 v8, 12, v8
	v_mul_lo_u16_e32 v8, 17, v8
	v_mov_b32_e32 v7, 5
	v_sub_u16_e32 v99, v15, v8
	v_lshlrev_b32_sdwa v8, v7, v99 dst_sel:DWORD dst_unused:UNUSED_PAD src0_sel:DWORD src1_sel:BYTE_0
	v_add_u32_e32 v14, 51, v74
	s_waitcnt lgkmcnt(0)
	; wave barrier
	s_waitcnt lgkmcnt(0)
	global_load_dwordx4 v[23:26], v[5:6], off
	global_load_dwordx4 v[55:58], v[5:6], off offset:16
	global_load_dwordx4 v[67:70], v8, s[12:13]
	global_load_dwordx4 v[75:78], v8, s[12:13] offset:16
	v_mul_lo_u16_sdwa v8, v14, s0 dst_sel:DWORD dst_unused:UNUSED_PAD src0_sel:BYTE_0 src1_sel:DWORD
	v_lshrrev_b16_e32 v8, 12, v8
	v_mul_lo_u16_e32 v8, 17, v8
	v_sub_u16_e32 v100, v14, v8
	v_lshlrev_b32_sdwa v8, v7, v100 dst_sel:DWORD dst_unused:UNUSED_PAD src0_sel:DWORD src1_sel:BYTE_0
	global_load_dwordx4 v[79:82], v8, s[12:13]
	global_load_dwordx4 v[83:86], v8, s[12:13] offset:16
	v_add_u32_e32 v11, 0x44, v74
	v_mul_lo_u16_sdwa v8, v11, s0 dst_sel:DWORD dst_unused:UNUSED_PAD src0_sel:BYTE_0 src1_sel:DWORD
	v_lshrrev_b16_e32 v8, 12, v8
	v_mul_lo_u16_e32 v8, 17, v8
	v_sub_u16_e32 v101, v11, v8
	v_lshlrev_b32_sdwa v7, v7, v101 dst_sel:DWORD dst_unused:UNUSED_PAD src0_sel:DWORD src1_sel:BYTE_0
	ds_read_b32 v16, v63
	ds_read2_b32 v[19:20], v64 offset0:85 offset1:102
	global_load_dwordx4 v[87:90], v7, s[12:13] offset:16
	global_load_dwordx4 v[91:94], v7, s[12:13]
	ds_read2_b32 v[27:28], v64 offset0:153 offset1:170
	ds_read2_b32 v[33:34], v65 offset0:127 offset1:144
	;; [unrolled: 1-line block ×11, first 2 shown]
	v_mov_b32_e32 v102, 2
	v_lshlrev_b32_sdwa v99, v102, v99 dst_sel:DWORD dst_unused:UNUSED_PAD src0_sel:DWORD src1_sel:BYTE_0
	s_waitcnt lgkmcnt(0)
	; wave barrier
	s_waitcnt vmcnt(7) lgkmcnt(0)
	v_mul_f32_e32 v104, v59, v24
	v_mul_f32_e32 v105, v28, v26
	;; [unrolled: 1-line block ×3, first 2 shown]
	s_waitcnt vmcnt(6)
	v_mul_f32_e32 v107, v33, v56
	v_mul_f32_e32 v103, v19, v24
	v_mul_f32_e32 v108, v53, v56
	v_mul_f32_e32 v111, v20, v24
	v_mul_f32_e32 v24, v60, v24
	v_mul_f32_e32 v112, v47, v26
	v_fmac_f32_e32 v104, v19, v23
	v_fma_f32 v19, v36, v25, -v105
	v_fmac_f32_e32 v106, v28, v25
	v_fma_f32 v28, v53, v55, -v107
	v_mul_f32_e32 v110, v30, v58
	v_mul_f32_e32 v26, v49, v26
	;; [unrolled: 1-line block ×4, first 2 shown]
	v_fmac_f32_e32 v108, v33, v55
	v_fma_f32 v33, v60, v23, -v111
	v_fmac_f32_e32 v24, v20, v23
	v_fma_f32 v20, v49, v25, -v112
	s_waitcnt vmcnt(3)
	v_mul_f32_e32 v49, v62, v80
	v_add_f32_e32 v60, v19, v28
	v_mul_f32_e32 v109, v38, v58
	v_fmac_f32_e32 v110, v38, v57
	v_fmac_f32_e32 v56, v34, v55
	v_mul_f32_e32 v34, v61, v68
	v_mul_f32_e32 v36, v43, v68
	v_fma_f32 v49, v44, v79, -v49
	v_mul_f32_e32 v44, v44, v80
	v_fma_f32 v60, -0.5, v60, v66
	v_fma_f32 v59, v59, v23, -v103
	v_fma_f32 v30, v30, v57, -v109
	v_fma_f32 v34, v43, v67, -v34
	v_fmac_f32_e32 v36, v61, v67
	v_mul_f32_e32 v38, v48, v70
	v_mul_f32_e32 v43, v50, v70
	v_fmac_f32_e32 v44, v62, v79
	v_sub_f32_e32 v61, v104, v110
	v_mov_b32_e32 v62, v60
	v_fma_f32 v38, v50, v69, -v38
	v_fmac_f32_e32 v43, v48, v69
	v_fmac_f32_e32 v62, 0x3f737871, v61
	v_sub_f32_e32 v67, v106, v108
	v_sub_f32_e32 v68, v59, v19
	;; [unrolled: 1-line block ×3, first 2 shown]
	v_fmac_f32_e32 v60, 0xbf737871, v61
	v_fmac_f32_e32 v62, 0x3f167918, v67
	v_add_f32_e32 v68, v68, v69
	v_fmac_f32_e32 v60, 0xbf167918, v67
	v_mul_f32_e32 v114, v51, v58
	v_mul_f32_e32 v58, v45, v58
	v_fmac_f32_e32 v62, 0x3e9e377a, v68
	v_fmac_f32_e32 v60, 0x3e9e377a, v68
	v_add_f32_e32 v68, v59, v30
	v_fmac_f32_e32 v26, v47, v25
	v_fma_f32 v25, v45, v57, -v114
	v_fmac_f32_e32 v58, v51, v57
	v_add_f32_e32 v57, v66, v59
	v_fmac_f32_e32 v66, -0.5, v68
	v_mov_b32_e32 v68, v66
	v_add_f32_e32 v57, v57, v19
	v_fmac_f32_e32 v68, 0xbf737871, v67
	v_fmac_f32_e32 v66, 0x3f737871, v67
	v_add_f32_e32 v67, v106, v108
	v_add_f32_e32 v57, v57, v28
	v_sub_f32_e32 v69, v19, v59
	v_sub_f32_e32 v70, v28, v30
	v_fma_f32 v67, -0.5, v67, v16
	v_add_f32_e32 v57, v57, v30
	v_fmac_f32_e32 v68, 0x3f167918, v61
	v_add_f32_e32 v69, v69, v70
	v_fmac_f32_e32 v66, 0xbf167918, v61
	v_sub_f32_e32 v30, v59, v30
	v_mov_b32_e32 v59, v67
	v_fmac_f32_e32 v68, 0x3e9e377a, v69
	v_fmac_f32_e32 v66, 0x3e9e377a, v69
	;; [unrolled: 1-line block ×3, first 2 shown]
	v_sub_f32_e32 v19, v19, v28
	v_sub_f32_e32 v28, v104, v106
	;; [unrolled: 1-line block ×3, first 2 shown]
	v_fmac_f32_e32 v67, 0x3f737871, v30
	v_fmac_f32_e32 v59, 0xbf167918, v19
	v_add_f32_e32 v28, v28, v69
	v_fmac_f32_e32 v67, 0x3f167918, v19
	v_fmac_f32_e32 v59, 0x3e9e377a, v28
	;; [unrolled: 1-line block ×3, first 2 shown]
	v_add_f32_e32 v28, v104, v110
	v_add_f32_e32 v61, v16, v104
	v_fmac_f32_e32 v16, -0.5, v28
	v_mov_b32_e32 v69, v16
	v_fmac_f32_e32 v69, 0x3f737871, v19
	v_sub_f32_e32 v28, v106, v104
	v_sub_f32_e32 v70, v108, v110
	v_fmac_f32_e32 v16, 0xbf737871, v19
	v_fma_f32 v23, v54, v55, -v113
	v_fmac_f32_e32 v69, 0xbf167918, v30
	v_add_f32_e32 v28, v28, v70
	v_fmac_f32_e32 v16, 0x3f167918, v30
	v_fmac_f32_e32 v69, 0x3e9e377a, v28
	;; [unrolled: 1-line block ×3, first 2 shown]
	v_add_f32_e32 v28, v20, v23
	v_mul_f32_e32 v45, v71, v76
	s_waitcnt vmcnt(2)
	v_mul_f32_e32 v51, v72, v84
	v_fma_f32 v28, -0.5, v28, v21
	v_fma_f32 v45, v41, v75, -v45
	v_mul_f32_e32 v41, v41, v76
	v_fma_f32 v51, v42, v83, -v51
	v_mul_f32_e32 v42, v42, v84
	v_sub_f32_e32 v30, v24, v58
	v_mov_b32_e32 v70, v28
	v_fmac_f32_e32 v41, v71, v75
	v_fmac_f32_e32 v42, v72, v83
	;; [unrolled: 1-line block ×3, first 2 shown]
	v_sub_f32_e32 v71, v26, v56
	v_sub_f32_e32 v72, v33, v20
	;; [unrolled: 1-line block ×3, first 2 shown]
	v_fmac_f32_e32 v28, 0xbf737871, v30
	v_fmac_f32_e32 v70, 0x3f167918, v71
	v_add_f32_e32 v72, v72, v75
	v_fmac_f32_e32 v28, 0xbf167918, v71
	v_fmac_f32_e32 v70, 0x3e9e377a, v72
	;; [unrolled: 1-line block ×3, first 2 shown]
	v_add_f32_e32 v72, v33, v25
	v_add_f32_e32 v19, v21, v33
	v_fma_f32 v21, -0.5, v72, v21
	v_mov_b32_e32 v72, v21
	v_fmac_f32_e32 v72, 0xbf737871, v71
	v_fmac_f32_e32 v21, 0x3f737871, v71
	;; [unrolled: 1-line block ×4, first 2 shown]
	v_add_f32_e32 v30, v9, v24
	v_add_f32_e32 v30, v30, v26
	v_sub_f32_e32 v75, v20, v33
	v_sub_f32_e32 v76, v23, v25
	v_add_f32_e32 v30, v30, v56
	v_add_f32_e32 v19, v19, v20
	;; [unrolled: 1-line block ×6, first 2 shown]
	v_fmac_f32_e32 v72, 0x3e9e377a, v75
	v_fmac_f32_e32 v21, 0x3e9e377a, v75
	v_fma_f32 v75, -0.5, v30, v9
	v_add_f32_e32 v19, v19, v25
	v_sub_f32_e32 v25, v33, v25
	v_mov_b32_e32 v76, v75
	v_fmac_f32_e32 v76, 0xbf737871, v25
	v_sub_f32_e32 v20, v20, v23
	v_sub_f32_e32 v23, v24, v26
	;; [unrolled: 1-line block ×3, first 2 shown]
	v_fmac_f32_e32 v75, 0x3f737871, v25
	v_fmac_f32_e32 v76, 0xbf167918, v20
	v_add_f32_e32 v23, v23, v30
	v_fmac_f32_e32 v75, 0x3f167918, v20
	v_fmac_f32_e32 v76, 0x3e9e377a, v23
	;; [unrolled: 1-line block ×3, first 2 shown]
	v_add_f32_e32 v23, v24, v58
	v_fma_f32 v9, -0.5, v23, v9
	v_mov_b32_e32 v23, v9
	v_fmac_f32_e32 v23, 0x3f737871, v20
	v_sub_f32_e32 v24, v26, v24
	v_sub_f32_e32 v26, v56, v58
	v_fmac_f32_e32 v9, 0xbf737871, v20
	v_mul_f32_e32 v47, v52, v78
	v_fmac_f32_e32 v23, 0xbf167918, v25
	v_add_f32_e32 v24, v24, v26
	v_fmac_f32_e32 v9, 0x3f167918, v25
	v_fma_f32 v47, v46, v77, -v47
	v_mul_f32_e32 v46, v46, v78
	v_fmac_f32_e32 v23, 0x3e9e377a, v24
	v_fmac_f32_e32 v9, 0x3e9e377a, v24
	v_add_f32_e32 v24, v38, v45
	v_fmac_f32_e32 v46, v52, v77
	v_fma_f32 v24, -0.5, v24, v22
	v_sub_f32_e32 v25, v36, v46
	v_mov_b32_e32 v26, v24
	v_fmac_f32_e32 v26, 0x3f737871, v25
	v_sub_f32_e32 v30, v43, v41
	v_sub_f32_e32 v33, v34, v38
	v_sub_f32_e32 v56, v47, v45
	v_fmac_f32_e32 v24, 0xbf737871, v25
	v_fmac_f32_e32 v26, 0x3f167918, v30
	v_add_f32_e32 v33, v33, v56
	v_fmac_f32_e32 v24, 0xbf167918, v30
	v_fmac_f32_e32 v26, 0x3e9e377a, v33
	;; [unrolled: 1-line block ×3, first 2 shown]
	v_add_f32_e32 v33, v34, v47
	v_add_f32_e32 v20, v22, v34
	v_fmac_f32_e32 v22, -0.5, v33
	v_mov_b32_e32 v33, v22
	v_fmac_f32_e32 v33, 0xbf737871, v30
	v_sub_f32_e32 v56, v38, v34
	v_sub_f32_e32 v58, v45, v47
	v_fmac_f32_e32 v22, 0x3f737871, v30
	v_fmac_f32_e32 v33, 0x3f167918, v25
	v_add_f32_e32 v56, v56, v58
	v_fmac_f32_e32 v22, 0xbf167918, v25
	v_add_f32_e32 v30, v43, v41
	v_fmac_f32_e32 v33, 0x3e9e377a, v56
	v_fmac_f32_e32 v22, 0x3e9e377a, v56
	v_fma_f32 v56, -0.5, v30, v10
	v_add_f32_e32 v20, v20, v38
	v_sub_f32_e32 v30, v34, v47
	v_mov_b32_e32 v58, v56
	v_add_f32_e32 v20, v20, v45
	v_fmac_f32_e32 v58, 0xbf737871, v30
	v_sub_f32_e32 v34, v38, v45
	v_sub_f32_e32 v38, v36, v43
	;; [unrolled: 1-line block ×3, first 2 shown]
	v_fmac_f32_e32 v56, 0x3f737871, v30
	v_fmac_f32_e32 v58, 0xbf167918, v34
	v_add_f32_e32 v38, v38, v45
	v_fmac_f32_e32 v56, 0x3f167918, v34
	v_fmac_f32_e32 v58, 0x3e9e377a, v38
	;; [unrolled: 1-line block ×3, first 2 shown]
	v_add_f32_e32 v38, v36, v46
	v_mul_f32_e32 v50, v95, v82
	v_add_f32_e32 v25, v10, v36
	v_fmac_f32_e32 v10, -0.5, v38
	v_fma_f32 v50, v39, v81, -v50
	v_mul_f32_e32 v52, v97, v86
	v_mov_b32_e32 v45, v10
	v_fma_f32 v52, v31, v85, -v52
	v_mul_f32_e32 v31, v31, v86
	v_fmac_f32_e32 v45, 0x3f737871, v34
	v_sub_f32_e32 v36, v43, v36
	v_sub_f32_e32 v38, v41, v46
	v_fmac_f32_e32 v10, 0xbf737871, v34
	v_add_f32_e32 v34, v50, v51
	v_mul_f32_e32 v39, v39, v82
	v_fmac_f32_e32 v31, v97, v85
	v_add_f32_e32 v25, v25, v43
	v_fmac_f32_e32 v45, 0xbf167918, v30
	v_add_f32_e32 v36, v36, v38
	v_fmac_f32_e32 v10, 0x3f167918, v30
	v_fma_f32 v34, -0.5, v34, v17
	v_fmac_f32_e32 v39, v95, v81
	v_add_f32_e32 v25, v25, v41
	v_fmac_f32_e32 v45, 0x3e9e377a, v36
	v_fmac_f32_e32 v10, 0x3e9e377a, v36
	v_sub_f32_e32 v36, v44, v31
	v_mov_b32_e32 v38, v34
	v_add_f32_e32 v25, v25, v46
	v_fmac_f32_e32 v38, 0x3f737871, v36
	v_sub_f32_e32 v41, v39, v42
	v_sub_f32_e32 v43, v49, v50
	;; [unrolled: 1-line block ×3, first 2 shown]
	v_fmac_f32_e32 v34, 0xbf737871, v36
	v_fmac_f32_e32 v38, 0x3f167918, v41
	v_add_f32_e32 v43, v43, v46
	v_fmac_f32_e32 v34, 0xbf167918, v41
	v_fmac_f32_e32 v38, 0x3e9e377a, v43
	;; [unrolled: 1-line block ×3, first 2 shown]
	v_add_f32_e32 v43, v49, v52
	v_add_f32_e32 v30, v17, v49
	v_fma_f32 v17, -0.5, v43, v17
	v_mov_b32_e32 v43, v17
	v_fmac_f32_e32 v43, 0xbf737871, v41
	v_fmac_f32_e32 v17, 0x3f737871, v41
	;; [unrolled: 1-line block ×4, first 2 shown]
	v_add_f32_e32 v36, v7, v44
	v_add_f32_e32 v20, v20, v47
	v_sub_f32_e32 v46, v50, v49
	v_sub_f32_e32 v47, v51, v52
	v_add_f32_e32 v36, v36, v39
	v_add_f32_e32 v46, v46, v47
	;; [unrolled: 1-line block ×4, first 2 shown]
	v_fmac_f32_e32 v43, 0x3e9e377a, v46
	v_fmac_f32_e32 v17, 0x3e9e377a, v46
	v_add_f32_e32 v46, v36, v31
	v_add_f32_e32 v36, v39, v42
	;; [unrolled: 1-line block ×3, first 2 shown]
	v_fma_f32 v77, -0.5, v36, v7
	v_add_f32_e32 v30, v30, v52
	v_sub_f32_e32 v36, v49, v52
	v_mov_b32_e32 v52, v77
	v_fmac_f32_e32 v52, 0xbf737871, v36
	v_sub_f32_e32 v41, v50, v51
	v_sub_f32_e32 v47, v44, v39
	;; [unrolled: 1-line block ×3, first 2 shown]
	v_fmac_f32_e32 v77, 0x3f737871, v36
	v_fmac_f32_e32 v52, 0xbf167918, v41
	v_add_f32_e32 v47, v47, v49
	v_fmac_f32_e32 v77, 0x3f167918, v41
	s_waitcnt vmcnt(0)
	v_mul_f32_e32 v54, v27, v92
	v_fmac_f32_e32 v52, 0x3e9e377a, v47
	v_fmac_f32_e32 v77, 0x3e9e377a, v47
	v_add_f32_e32 v47, v44, v31
	v_fma_f32 v54, v35, v91, -v54
	v_mul_f32_e32 v35, v35, v92
	v_mul_f32_e32 v55, v37, v88
	v_fma_f32 v7, -0.5, v47, v7
	v_fmac_f32_e32 v35, v27, v91
	v_mul_f32_e32 v27, v96, v94
	v_fma_f32 v55, v29, v87, -v55
	v_mul_f32_e32 v29, v29, v88
	v_mov_b32_e32 v78, v7
	v_fma_f32 v27, v40, v93, -v27
	v_fmac_f32_e32 v29, v37, v87
	v_mul_f32_e32 v37, v98, v90
	v_fmac_f32_e32 v78, 0x3f737871, v41
	v_fmac_f32_e32 v7, 0xbf737871, v41
	v_fma_f32 v37, v32, v89, -v37
	v_mul_f32_e32 v32, v32, v90
	v_fmac_f32_e32 v78, 0xbf167918, v36
	v_fmac_f32_e32 v7, 0x3f167918, v36
	v_add_f32_e32 v36, v27, v55
	v_mul_f32_e32 v40, v40, v94
	v_fmac_f32_e32 v32, v98, v89
	v_sub_f32_e32 v39, v39, v44
	v_sub_f32_e32 v31, v42, v31
	v_fma_f32 v36, -0.5, v36, v18
	v_fmac_f32_e32 v40, v96, v93
	v_add_f32_e32 v31, v39, v31
	v_sub_f32_e32 v39, v35, v32
	v_mov_b32_e32 v41, v36
	v_fmac_f32_e32 v41, 0x3f737871, v39
	v_sub_f32_e32 v42, v40, v29
	v_sub_f32_e32 v44, v54, v27
	;; [unrolled: 1-line block ×3, first 2 shown]
	v_fmac_f32_e32 v36, 0xbf737871, v39
	v_fmac_f32_e32 v41, 0x3f167918, v42
	v_add_f32_e32 v44, v44, v47
	v_fmac_f32_e32 v36, 0xbf167918, v42
	v_fmac_f32_e32 v41, 0x3e9e377a, v44
	;; [unrolled: 1-line block ×3, first 2 shown]
	v_add_f32_e32 v44, v54, v37
	v_fmac_f32_e32 v78, 0x3e9e377a, v31
	v_fmac_f32_e32 v7, 0x3e9e377a, v31
	v_add_f32_e32 v31, v18, v54
	v_fmac_f32_e32 v18, -0.5, v44
	v_mov_b32_e32 v44, v18
	v_add_f32_e32 v31, v31, v27
	v_fmac_f32_e32 v44, 0xbf737871, v42
	v_fmac_f32_e32 v18, 0x3f737871, v42
	v_add_f32_e32 v42, v40, v29
	v_add_f32_e32 v31, v31, v55
	v_sub_f32_e32 v47, v27, v54
	v_sub_f32_e32 v49, v55, v37
	v_fma_f32 v79, -0.5, v42, v8
	v_add_f32_e32 v31, v31, v37
	v_fmac_f32_e32 v44, 0x3f167918, v39
	v_add_f32_e32 v47, v47, v49
	v_fmac_f32_e32 v18, 0xbf167918, v39
	v_sub_f32_e32 v37, v54, v37
	v_mov_b32_e32 v54, v79
	v_fmac_f32_e32 v44, 0x3e9e377a, v47
	v_fmac_f32_e32 v18, 0x3e9e377a, v47
	;; [unrolled: 1-line block ×3, first 2 shown]
	v_sub_f32_e32 v27, v27, v55
	v_sub_f32_e32 v42, v35, v40
	;; [unrolled: 1-line block ×3, first 2 shown]
	v_fmac_f32_e32 v79, 0x3f737871, v37
	v_fmac_f32_e32 v54, 0xbf167918, v27
	v_add_f32_e32 v42, v42, v47
	v_fmac_f32_e32 v79, 0x3f167918, v27
	v_fmac_f32_e32 v54, 0x3e9e377a, v42
	;; [unrolled: 1-line block ×3, first 2 shown]
	v_add_f32_e32 v42, v35, v32
	v_add_f32_e32 v39, v8, v35
	v_fmac_f32_e32 v8, -0.5, v42
	v_lshlrev_b32_sdwa v48, v102, v100 dst_sel:DWORD dst_unused:UNUSED_PAD src0_sel:DWORD src1_sel:BYTE_0
	v_lshlrev_b32_sdwa v53, v102, v101 dst_sel:DWORD dst_unused:UNUSED_PAD src0_sel:DWORD src1_sel:BYTE_0
	v_add_f32_e32 v39, v39, v40
	v_mov_b32_e32 v55, v8
	ds_write2_b32 v64, v57, v62 offset1:17
	ds_write2_b32 v64, v68, v66 offset0:34 offset1:51
	ds_write2_b32 v64, v60, v19 offset0:68 offset1:85
	ds_write2_b32 v64, v70, v72 offset0:102 offset1:119
	ds_write2_b32 v64, v21, v28 offset0:136 offset1:153
	v_add3_u32 v21, 0, v99, v73
	v_add_f32_e32 v39, v39, v29
	v_fmac_f32_e32 v55, 0x3f737871, v27
	v_sub_f32_e32 v35, v40, v35
	v_sub_f32_e32 v29, v29, v32
	v_fmac_f32_e32 v8, 0xbf737871, v27
	ds_write2_b32 v21, v20, v26 offset0:170 offset1:187
	ds_write2_b32 v21, v33, v22 offset0:204 offset1:221
	ds_write_b32 v21, v24 offset:952
	v_add3_u32 v22, 0, v48, v73
	v_add3_u32 v40, 0, v53, v73
	v_fmac_f32_e32 v55, 0xbf167918, v37
	v_add_f32_e32 v29, v35, v29
	v_fmac_f32_e32 v8, 0x3f167918, v37
	v_add_u32_e32 v24, 0x200, v22
	v_add_u32_e32 v26, 0x400, v22
	v_add_u32_e32 v53, 0x400, v40
	v_add_f32_e32 v39, v39, v32
	v_fmac_f32_e32 v55, 0x3e9e377a, v29
	v_fmac_f32_e32 v8, 0x3e9e377a, v29
	ds_write2_b32 v24, v30, v38 offset0:127 offset1:144
	ds_write2_b32 v26, v43, v17 offset0:33 offset1:50
	ds_write_b32 v22, v34 offset:1292
	ds_write2_b32 v53, v31, v41 offset0:84 offset1:101
	ds_write2_b32 v53, v44, v18 offset0:118 offset1:135
	ds_write_b32 v40, v36 offset:1632
	s_waitcnt lgkmcnt(0)
	; wave barrier
	s_waitcnt lgkmcnt(0)
	ds_read_b32 v51, v63
	ds_read2_b32 v[29:30], v64 offset0:85 offset1:102
	ds_read2_b32 v[33:34], v64 offset0:153 offset1:170
	;; [unrolled: 1-line block ×12, first 2 shown]
	v_add_f32_e32 v61, v61, v106
	v_add_f32_e32 v61, v61, v108
	;; [unrolled: 1-line block ×3, first 2 shown]
	s_waitcnt lgkmcnt(0)
	; wave barrier
	s_waitcnt lgkmcnt(0)
	ds_write2_b32 v64, v61, v59 offset1:17
	ds_write2_b32 v64, v69, v16 offset0:34 offset1:51
	ds_write2_b32 v64, v67, v71 offset0:68 offset1:85
	;; [unrolled: 1-line block ×6, first 2 shown]
	ds_write_b32 v21, v56 offset:952
	ds_write2_b32 v24, v46, v52 offset0:127 offset1:144
	ds_write2_b32 v26, v78, v7 offset0:33 offset1:50
	ds_write_b32 v22, v77 offset:1292
	ds_write2_b32 v53, v39, v54 offset0:84 offset1:101
	ds_write2_b32 v53, v55, v8 offset0:118 offset1:135
	ds_write_b32 v40, v79 offset:1632
	s_waitcnt lgkmcnt(0)
	; wave barrier
	s_waitcnt lgkmcnt(0)
	s_and_saveexec_b64 s[0:1], vcc
	s_cbranch_execz .LBB0_20
; %bb.19:
	v_lshlrev_b32_e32 v11, 2, v11
	v_lshlrev_b64 v[7:8], 3, v[11:12]
	v_mov_b32_e32 v73, s13
	v_add_co_u32_e32 v25, vcc, s12, v7
	v_addc_co_u32_e32 v26, vcc, v73, v8, vcc
	global_load_dwordx4 v[7:10], v[25:26], off offset:544
	global_load_dwordx4 v[21:24], v[25:26], off offset:560
	v_lshlrev_b32_e32 v11, 2, v14
	v_mul_lo_u32 v13, s5, v3
	v_mul_lo_u32 v16, s4, v4
	v_mad_u64_u32 v[25:26], s[0:1], s4, v3, 0
	v_lshlrev_b64 v[3:4], 3, v[11:12]
	ds_read2_b32 v[39:40], v64 offset0:153 offset1:170
	ds_read2_b32 v[60:61], v64 offset0:221 offset1:238
	v_add_co_u32_e32 v3, vcc, s12, v3
	v_addc_co_u32_e32 v4, vcc, v73, v4, vcc
	v_add_u32_e32 v80, 0x400, v64
	ds_read2_b32 v[75:76], v64 offset0:51 offset1:68
	ds_read2_b32 v[77:78], v80 offset0:135 offset1:152
	;; [unrolled: 1-line block ×3, first 2 shown]
	global_load_dwordx4 v[52:55], v[3:4], off offset:560
	global_load_dwordx4 v[56:59], v[3:4], off offset:544
	v_add3_u32 v26, v26, v16, v13
	s_mov_b32 s0, 0xc0c0c0c1
	s_movk_i32 s1, 0x55
	v_lshlrev_b64 v[25:26], 3, v[25:26]
	s_waitcnt vmcnt(3)
	v_mul_f32_e32 v11, v33, v8
	v_mul_f32_e32 v16, v20, v10
	s_waitcnt vmcnt(2)
	v_mul_f32_e32 v62, v18, v24
	v_mul_f32_e32 v65, v27, v22
	s_waitcnt lgkmcnt(3)
	v_mul_f32_e32 v3, v61, v10
	s_waitcnt lgkmcnt(0)
	v_mul_f32_e32 v4, v45, v22
	v_fmac_f32_e32 v11, v39, v7
	v_fmac_f32_e32 v16, v61, v9
	v_fmac_f32_e32 v62, v78, v23
	v_mul_f32_e32 v8, v39, v8
	v_fmac_f32_e32 v65, v45, v21
	v_fma_f32 v20, v20, v9, -v3
	v_fma_f32 v21, v27, v21, -v4
	v_sub_f32_e32 v3, v11, v16
	v_sub_f32_e32 v27, v11, v62
	;; [unrolled: 1-line block ×3, first 2 shown]
	v_add_f32_e32 v61, v11, v62
	v_add_f32_e32 v11, v11, v76
	;; [unrolled: 1-line block ×3, first 2 shown]
	v_fma_f32 v22, v33, v7, -v8
	v_add_f32_e32 v11, v65, v11
	v_mul_f32_e32 v10, v78, v24
	v_add_f32_e32 v7, v16, v65
	v_sub_f32_e32 v33, v16, v65
	v_add_f32_e32 v16, v62, v11
	v_add_f32_e32 v11, v36, v22
	v_fma_f32 v18, v18, v23, -v10
	v_add_f32_e32 v11, v11, v20
	v_sub_f32_e32 v24, v22, v18
	v_sub_f32_e32 v8, v22, v20
	v_add_f32_e32 v10, v20, v21
	v_sub_f32_e32 v66, v20, v22
	v_add_f32_e32 v68, v22, v18
	v_add_f32_e32 v22, v11, v21
	v_lshlrev_b32_e32 v11, 2, v15
	v_sub_f32_e32 v4, v62, v65
	v_sub_f32_e32 v23, v20, v21
	;; [unrolled: 1-line block ×4, first 2 shown]
	v_fma_f32 v14, -0.5, v7, v76
	v_fma_f32 v13, -0.5, v10, v36
	v_lshlrev_b64 v[20:21], 3, v[11:12]
	v_add_f32_e32 v69, v3, v4
	v_mov_b32_e32 v4, v14
	v_mov_b32_e32 v3, v13
	v_fmac_f32_e32 v14, 0xbf737871, v24
	v_fmac_f32_e32 v4, 0x3f737871, v24
	;; [unrolled: 1-line block ×4, first 2 shown]
	v_add_co_u32_e32 v20, vcc, s12, v20
	v_sub_f32_e32 v45, v65, v62
	v_add_f32_e32 v70, v8, v9
	v_fmac_f32_e32 v14, 0xbf167918, v23
	v_fmac_f32_e32 v4, 0x3f167918, v23
	v_fmac_f32_e32 v3, 0xbf167918, v33
	v_fmac_f32_e32 v13, 0x3f167918, v33
	v_addc_co_u32_e32 v21, vcc, v73, v21, vcc
	v_add_f32_e32 v39, v39, v45
	v_fma_f32 v10, -0.5, v61, v76
	v_add_f32_e32 v45, v66, v67
	v_fma_f32 v9, -0.5, v68, v36
	v_fmac_f32_e32 v4, 0x3e9e377a, v69
	v_fmac_f32_e32 v3, 0x3e9e377a, v70
	;; [unrolled: 1-line block ×4, first 2 shown]
	ds_read2_b32 v[61:62], v64 offset0:119 offset1:136
	global_load_dwordx4 v[65:68], v[20:21], off offset:560
	global_load_dwordx4 v[69:72], v[20:21], off offset:544
	ds_read2_b32 v[78:79], v80 offset0:33 offset1:50
	v_mov_b32_e32 v7, v9
	v_fmac_f32_e32 v9, 0xbf737871, v33
	v_fmac_f32_e32 v7, 0x3f737871, v33
	v_mov_b32_e32 v8, v10
	v_fmac_f32_e32 v9, 0x3f167918, v27
	v_fmac_f32_e32 v7, 0xbf167918, v27
	s_waitcnt vmcnt(2)
	v_mul_f32_e32 v11, v50, v57
	v_mul_f32_e32 v27, v19, v59
	;; [unrolled: 1-line block ×4, first 2 shown]
	v_fmac_f32_e32 v10, 0x3f737871, v23
	v_fmac_f32_e32 v8, 0xbf737871, v23
	s_waitcnt lgkmcnt(1)
	v_fmac_f32_e32 v11, v62, v56
	v_fmac_f32_e32 v27, v60, v58
	;; [unrolled: 1-line block ×3, first 2 shown]
	s_waitcnt lgkmcnt(0)
	v_fmac_f32_e32 v36, v79, v52
	v_fmac_f32_e32 v10, 0xbf167918, v24
	v_fmac_f32_e32 v8, 0x3f167918, v24
	v_add_f32_e32 v15, v18, v22
	v_sub_f32_e32 v18, v11, v27
	v_sub_f32_e32 v20, v33, v36
	v_fmac_f32_e32 v10, 0x3e9e377a, v39
	v_fmac_f32_e32 v8, 0x3e9e377a, v39
	v_add_f32_e32 v39, v18, v20
	v_mul_f32_e32 v18, v60, v59
	v_fmac_f32_e32 v9, 0x3e9e377a, v45
	v_fmac_f32_e32 v7, 0x3e9e377a, v45
	v_fma_f32 v45, v19, v58, -v18
	v_mul_f32_e32 v18, v79, v53
	v_fma_f32 v48, v48, v52, -v18
	v_mul_f32_e32 v18, v62, v57
	;; [unrolled: 2-line block ×3, first 2 shown]
	v_fma_f32 v53, v17, v54, -v18
	v_add_f32_e32 v17, v27, v36
	v_fma_f32 v22, -0.5, v17, v75
	v_sub_f32_e32 v17, v50, v45
	v_sub_f32_e32 v19, v53, v48
	v_add_f32_e32 v55, v17, v19
	v_sub_f32_e32 v19, v27, v11
	v_sub_f32_e32 v20, v36, v33
	;; [unrolled: 1-line block ×3, first 2 shown]
	v_add_f32_e32 v58, v19, v20
	v_add_f32_e32 v19, v11, v33
	;; [unrolled: 1-line block ×5, first 2 shown]
	v_sub_f32_e32 v57, v27, v36
	v_add_f32_e32 v36, v33, v11
	v_add_f32_e32 v11, v35, v50
	v_fma_f32 v24, -0.5, v19, v75
	v_sub_f32_e32 v19, v45, v50
	v_sub_f32_e32 v23, v48, v53
	v_add_f32_e32 v11, v11, v45
	v_add_f32_e32 v17, v45, v48
	v_add_f32_e32 v59, v19, v23
	v_add_f32_e32 v19, v50, v53
	v_add_f32_e32 v11, v11, v48
	v_fma_f32 v21, -0.5, v17, v35
	v_fma_f32 v23, -0.5, v19, v35
	v_add_f32_e32 v35, v53, v11
	v_lshlrev_b32_e32 v11, 2, v0
	v_lshlrev_b64 v[11:12], 3, v[11:12]
	v_sub_f32_e32 v52, v45, v48
	v_mov_b32_e32 v17, v21
	v_mov_b32_e32 v20, v24
	;; [unrolled: 1-line block ×3, first 2 shown]
	v_sub_f32_e32 v54, v50, v53
	v_mov_b32_e32 v18, v22
	v_fmac_f32_e32 v17, 0xbf737871, v56
	v_fmac_f32_e32 v20, 0xbf737871, v52
	;; [unrolled: 1-line block ×6, first 2 shown]
	v_add_co_u32_e32 v11, vcc, s12, v11
	v_fmac_f32_e32 v18, 0x3f737871, v54
	v_fmac_f32_e32 v17, 0xbf167918, v57
	;; [unrolled: 1-line block ×8, first 2 shown]
	v_addc_co_u32_e32 v12, vcc, v73, v12, vcc
	v_fmac_f32_e32 v18, 0x3f167918, v52
	v_fmac_f32_e32 v17, 0x3e9e377a, v55
	;; [unrolled: 1-line block ×8, first 2 shown]
	ds_read2_b32 v[75:76], v64 offset0:187 offset1:204
	global_load_dwordx4 v[52:55], v[11:12], off offset:560
	global_load_dwordx4 v[56:59], v[11:12], off offset:544
	ds_read2_b32 v[79:80], v80 offset0:101 offset1:118
	s_waitcnt vmcnt(2)
	v_mul_f32_e32 v27, v42, v72
	v_mul_f32_e32 v0, v49, v70
	;; [unrolled: 1-line block ×4, first 2 shown]
	s_waitcnt lgkmcnt(1)
	v_fmac_f32_e32 v27, v76, v71
	v_fmac_f32_e32 v0, v61, v69
	v_fmac_f32_e32 v33, v78, v65
	s_waitcnt lgkmcnt(0)
	v_fmac_f32_e32 v62, v80, v67
	v_sub_f32_e32 v11, v27, v0
	v_sub_f32_e32 v12, v33, v62
	v_add_f32_e32 v11, v11, v12
	v_mul_f32_e32 v12, v61, v70
	ds_read2_b32 v[60:61], v64 offset0:17 offset1:34
	v_fma_f32 v69, v49, v69, -v12
	v_mul_f32_e32 v12, v80, v68
	v_fma_f32 v67, v44, v67, -v12
	v_add_f32_e32 v12, v0, v62
	s_waitcnt lgkmcnt(0)
	v_fma_f32 v48, -0.5, v12, v61
	v_mul_f32_e32 v12, v76, v72
	v_fma_f32 v42, v42, v71, -v12
	v_mul_f32_e32 v12, v78, v66
	v_fma_f32 v65, v47, v65, -v12
	v_sub_f32_e32 v44, v42, v65
	v_mov_b32_e32 v45, v48
	v_fmac_f32_e32 v18, 0x3e9e377a, v39
	v_fmac_f32_e32 v22, 0x3e9e377a, v39
	v_sub_f32_e32 v39, v69, v67
	v_fmac_f32_e32 v45, 0xbf737871, v44
	v_fmac_f32_e32 v48, 0x3f737871, v44
	;; [unrolled: 1-line block ×6, first 2 shown]
	v_sub_f32_e32 v11, v0, v27
	v_sub_f32_e32 v12, v62, v33
	v_add_f32_e32 v11, v11, v12
	v_add_f32_e32 v12, v27, v33
	v_fma_f32 v50, -0.5, v12, v61
	v_mov_b32_e32 v12, v50
	v_fmac_f32_e32 v12, 0x3f737871, v39
	v_fmac_f32_e32 v50, 0xbf737871, v39
	;; [unrolled: 1-line block ×6, first 2 shown]
	v_add_f32_e32 v11, v0, v61
	v_add_f32_e32 v11, v27, v11
	;; [unrolled: 1-line block ×4, first 2 shown]
	v_sub_f32_e32 v11, v42, v69
	v_sub_f32_e32 v44, v65, v67
	v_add_f32_e32 v11, v11, v44
	v_add_f32_e32 v44, v69, v67
	v_fma_f32 v47, -0.5, v44, v38
	v_sub_f32_e32 v27, v27, v33
	v_mov_b32_e32 v44, v47
	v_fmac_f32_e32 v44, 0x3f737871, v27
	v_sub_f32_e32 v0, v0, v62
	v_fmac_f32_e32 v47, 0xbf737871, v27
	v_fmac_f32_e32 v44, 0xbf167918, v0
	;; [unrolled: 1-line block ×5, first 2 shown]
	v_sub_f32_e32 v11, v69, v42
	v_sub_f32_e32 v33, v67, v65
	v_add_f32_e32 v33, v11, v33
	v_add_f32_e32 v11, v42, v65
	v_fma_f32 v49, -0.5, v11, v38
	v_mov_b32_e32 v11, v49
	v_fmac_f32_e32 v11, 0xbf737871, v0
	v_fmac_f32_e32 v49, 0x3f737871, v0
	v_add_f32_e32 v0, v38, v69
	v_add_f32_e32 v0, v42, v0
	;; [unrolled: 1-line block ×4, first 2 shown]
	global_load_dwordx4 v[65:68], v[5:6], off offset:560
	global_load_dwordx4 v[69:72], v[5:6], off offset:544
	v_fmac_f32_e32 v11, 0xbf167918, v27
	v_fmac_f32_e32 v49, 0x3f167918, v27
	v_add_u32_e32 v27, 0x200, v64
	ds_read2_b32 v[5:6], v64 offset0:85 offset1:102
	ds_read2_b32 v[61:62], v27 offset0:127 offset1:144
	s_waitcnt vmcnt(2)
	v_mul_f32_e32 v0, v41, v59
	v_mul_f32_e32 v27, v30, v57
	;; [unrolled: 1-line block ×4, first 2 shown]
	v_fmac_f32_e32 v0, v75, v58
	s_waitcnt lgkmcnt(1)
	v_fmac_f32_e32 v27, v6, v56
	s_waitcnt lgkmcnt(0)
	v_fmac_f32_e32 v64, v62, v52
	v_fmac_f32_e32 v73, v79, v54
	;; [unrolled: 1-line block ×4, first 2 shown]
	v_sub_f32_e32 v33, v0, v27
	v_sub_f32_e32 v42, v64, v73
	v_add_f32_e32 v76, v33, v42
	v_mul_f32_e32 v6, v6, v57
	v_mul_f32_e32 v42, v75, v59
	v_fma_f32 v6, v30, v56, -v6
	v_mul_f32_e32 v30, v79, v55
	v_fma_f32 v56, v41, v58, -v42
	;; [unrolled: 2-line block ×3, first 2 shown]
	v_fma_f32 v58, v32, v52, -v41
	v_sub_f32_e32 v32, v56, v6
	v_sub_f32_e32 v41, v58, v30
	v_add_f32_e32 v52, v32, v41
	v_add_f32_e32 v32, v6, v30
	;; [unrolled: 1-line block ×3, first 2 shown]
	v_fma_f32 v32, -0.5, v32, v37
	v_fma_f32 v33, -0.5, v33, v60
	v_sub_f32_e32 v62, v0, v64
	v_mov_b32_e32 v41, v32
	v_sub_f32_e32 v59, v56, v58
	v_mov_b32_e32 v42, v33
	v_fmac_f32_e32 v41, 0x3f737871, v62
	v_sub_f32_e32 v75, v27, v73
	v_fmac_f32_e32 v32, 0xbf737871, v62
	v_sub_f32_e32 v43, v6, v30
	v_fmac_f32_e32 v42, 0xbf737871, v59
	v_fmac_f32_e32 v41, 0xbf167918, v75
	;; [unrolled: 1-line block ×8, first 2 shown]
	v_sub_f32_e32 v52, v27, v0
	v_sub_f32_e32 v53, v73, v64
	v_fmac_f32_e32 v42, 0x3e9e377a, v76
	v_fmac_f32_e32 v33, 0x3e9e377a, v76
	v_add_f32_e32 v76, v52, v53
	v_add_f32_e32 v52, v0, v64
	;; [unrolled: 1-line block ×3, first 2 shown]
	v_fma_f32 v53, -0.5, v52, v60
	v_sub_f32_e32 v52, v6, v56
	v_sub_f32_e32 v54, v30, v58
	v_add_f32_e32 v0, v0, v27
	v_add_f32_e32 v77, v52, v54
	;; [unrolled: 1-line block ×4, first 2 shown]
	v_fma_f32 v52, -0.5, v52, v37
	v_add_f32_e32 v57, v73, v0
	v_add_f32_e32 v0, v37, v6
	v_mov_b32_e32 v54, v52
	v_add_f32_e32 v0, v56, v0
	v_mov_b32_e32 v55, v53
	v_fmac_f32_e32 v54, 0x3f737871, v75
	v_add_f32_e32 v0, v0, v58
	v_fmac_f32_e32 v52, 0xbf737871, v75
	v_fmac_f32_e32 v55, 0xbf737871, v43
	;; [unrolled: 1-line block ×3, first 2 shown]
	v_add_f32_e32 v56, v0, v30
	v_fmac_f32_e32 v53, 0x3f737871, v43
	v_fmac_f32_e32 v52, 0xbf167918, v62
	;; [unrolled: 1-line block ×3, first 2 shown]
	s_waitcnt vmcnt(1)
	v_mul_f32_e32 v43, v28, v68
	s_waitcnt vmcnt(0)
	v_mul_f32_e32 v0, v29, v70
	v_mul_f32_e32 v37, v34, v72
	;; [unrolled: 1-line block ×3, first 2 shown]
	v_fmac_f32_e32 v0, v5, v69
	v_fmac_f32_e32 v37, v40, v71
	;; [unrolled: 1-line block ×4, first 2 shown]
	v_sub_f32_e32 v6, v0, v37
	v_sub_f32_e32 v27, v43, v62
	v_add_f32_e32 v60, v6, v27
	v_mul_f32_e32 v6, v40, v72
	v_fma_f32 v34, v34, v71, -v6
	v_mul_f32_e32 v6, v61, v66
	ds_read_b32 v61, v63
	v_mul_f32_e32 v5, v5, v70
	v_fma_f32 v64, v29, v69, -v5
	v_mul_f32_e32 v5, v46, v68
	v_fma_f32 v46, v28, v67, -v5
	v_add_f32_e32 v5, v37, v62
	v_sub_f32_e32 v29, v37, v0
	v_sub_f32_e32 v30, v62, v43
	v_fma_f32 v31, v31, v65, -v6
	s_waitcnt lgkmcnt(0)
	v_fma_f32 v6, -0.5, v5, v61
	v_add_f32_e32 v68, v29, v30
	v_add_f32_e32 v29, v0, v43
	v_sub_f32_e32 v63, v64, v46
	v_mov_b32_e32 v28, v6
	v_fma_f32 v30, -0.5, v29, v61
	v_fmac_f32_e32 v53, 0x3f167918, v59
	v_sub_f32_e32 v40, v34, v31
	v_fmac_f32_e32 v28, 0x3f737871, v63
	v_mov_b32_e32 v59, v30
	v_fmac_f32_e32 v6, 0xbf737871, v63
	v_fmac_f32_e32 v28, 0x3f167918, v40
	;; [unrolled: 1-line block ×5, first 2 shown]
	v_mul_hi_u32 v40, v74, s0
	v_sub_f32_e32 v66, v0, v43
	v_add_f32_e32 v0, v0, v61
	v_sub_f32_e32 v67, v37, v62
	v_lshrrev_b32_e32 v40, 6, v40
	v_mul_lo_u32 v40, v40, s1
	v_add_f32_e32 v0, v37, v0
	v_fmac_f32_e32 v28, 0x3e9e377a, v60
	v_fmac_f32_e32 v6, 0x3e9e377a, v60
	v_sub_u32_e32 v37, v74, v40
	v_mad_u64_u32 v[60:61], s[4:5], s2, v37, 0
	v_add_f32_e32 v0, v62, v0
	v_fmac_f32_e32 v59, 0x3f167918, v63
	v_fmac_f32_e32 v30, 0xbf167918, v63
	v_add_f32_e32 v63, v43, v0
	v_add_f32_e32 v40, v51, v64
	v_mov_b32_e32 v0, v61
	v_mad_u64_u32 v[61:62], s[4:5], s3, v37, v[0:1]
	v_add_f32_e32 v0, v40, v34
	v_sub_f32_e32 v5, v64, v34
	v_sub_f32_e32 v27, v46, v31
	v_add_f32_e32 v0, v0, v31
	v_add_f32_e32 v65, v5, v27
	;; [unrolled: 1-line block ×3, first 2 shown]
	v_sub_f32_e32 v58, v31, v46
	v_add_f32_e32 v62, v46, v0
	v_mov_b32_e32 v0, s11
	v_add_co_u32_e32 v31, vcc, s10, v25
	v_add_u32_e32 v40, 0x55, v37
	v_sub_f32_e32 v29, v34, v64
	v_addc_co_u32_e32 v34, vcc, v0, v26, vcc
	v_mad_u64_u32 v[25:26], s[4:5], s2, v40, 0
	v_lshlrev_b64 v[0:1], 3, v[1:2]
	v_fma_f32 v5, -0.5, v5, v51
	v_add_co_u32_e32 v43, vcc, v31, v0
	v_mov_b32_e32 v2, v26
	v_addc_co_u32_e32 v34, vcc, v34, v1, vcc
	v_lshlrev_b64 v[0:1], 3, v[60:61]
	v_mad_u64_u32 v[60:61], s[4:5], s3, v40, v[2:3]
	v_add_co_u32_e32 v0, vcc, v43, v0
	v_addc_co_u32_e32 v1, vcc, v34, v1, vcc
	v_mov_b32_e32 v26, v60
	v_add_u32_e32 v31, 0xaa, v37
	global_store_dwordx2 v[0:1], v[62:63], off
	v_lshlrev_b64 v[0:1], 3, v[25:26]
	v_mad_u64_u32 v[25:26], s[4:5], s2, v31, 0
	v_mov_b32_e32 v27, v5
	v_fmac_f32_e32 v5, 0x3f737871, v66
	v_mov_b32_e32 v2, v26
	v_mad_u64_u32 v[60:61], s[4:5], s3, v31, v[2:3]
	v_add_u32_e32 v31, 0xff, v37
	v_mad_u64_u32 v[61:62], s[4:5], s2, v31, 0
	v_fmac_f32_e32 v5, 0x3f167918, v67
	v_add_co_u32_e32 v0, vcc, v43, v0
	v_fmac_f32_e32 v5, 0x3e9e377a, v65
	v_addc_co_u32_e32 v1, vcc, v34, v1, vcc
	v_mov_b32_e32 v2, v62
	v_add_f32_e32 v69, v29, v58
	v_add_f32_e32 v29, v64, v46
	global_store_dwordx2 v[0:1], v[5:6], off
	v_mov_b32_e32 v26, v60
	v_mad_u64_u32 v[5:6], s[4:5], s3, v31, v[2:3]
	v_fma_f32 v29, -0.5, v29, v51
	v_lshlrev_b64 v[0:1], 3, v[25:26]
	v_add_u32_e32 v25, 17, v74
	v_mov_b32_e32 v58, v29
	v_fmac_f32_e32 v29, 0xbf737871, v67
	v_mul_hi_u32 v26, v25, s0
	v_fmac_f32_e32 v29, 0x3f167918, v66
	v_add_co_u32_e32 v0, vcc, v43, v0
	v_fmac_f32_e32 v30, 0x3e9e377a, v68
	v_fmac_f32_e32 v29, 0x3e9e377a, v69
	v_addc_co_u32_e32 v1, vcc, v34, v1, vcc
	v_mov_b32_e32 v62, v5
	v_add_u32_e32 v2, 0x154, v37
	global_store_dwordx2 v[0:1], v[29:30], off
	v_lshlrev_b64 v[0:1], 3, v[61:62]
	v_mad_u64_u32 v[5:6], s[4:5], s2, v2, 0
	v_fmac_f32_e32 v58, 0x3f737871, v67
	v_lshrrev_b32_e32 v26, 6, v26
	v_fmac_f32_e32 v58, 0xbf167918, v66
	v_add_co_u32_e32 v0, vcc, v43, v0
	v_mul_lo_u32 v29, v26, s1
	v_fmac_f32_e32 v59, 0x3e9e377a, v68
	v_fmac_f32_e32 v58, 0x3e9e377a, v69
	v_addc_co_u32_e32 v1, vcc, v34, v1, vcc
	global_store_dwordx2 v[0:1], v[58:59], off
	v_mov_b32_e32 v0, v6
	v_mad_u64_u32 v[0:1], s[4:5], s3, v2, v[0:1]
	v_sub_u32_e32 v1, v25, v29
	s_movk_i32 s4, 0x1a9
	v_mad_u64_u32 v[1:2], s[6:7], v26, s4, v[1:2]
	v_mov_b32_e32 v6, v0
	v_lshlrev_b64 v[5:6], 3, v[5:6]
	v_mad_u64_u32 v[25:26], s[6:7], s2, v1, 0
	v_add_u32_e32 v2, 0x55, v1
	v_fmac_f32_e32 v27, 0xbf737871, v66
	v_mov_b32_e32 v0, v26
	v_mad_u64_u32 v[29:30], s[6:7], s3, v1, v[0:1]
	v_mad_u64_u32 v[30:31], s[6:7], s2, v2, 0
	v_fmac_f32_e32 v27, 0xbf167918, v67
	v_add_co_u32_e32 v5, vcc, v43, v5
	v_fmac_f32_e32 v27, 0x3e9e377a, v65
	v_addc_co_u32_e32 v6, vcc, v34, v6, vcc
	v_mov_b32_e32 v26, v29
	v_mov_b32_e32 v0, v31
	global_store_dwordx2 v[5:6], v[27:28], off
	v_lshlrev_b64 v[5:6], 3, v[25:26]
	v_mad_u64_u32 v[25:26], s[6:7], s3, v2, v[0:1]
	v_add_u32_e32 v2, 0xaa, v1
	v_add_co_u32_e32 v5, vcc, v43, v5
	v_mov_b32_e32 v31, v25
	v_mad_u64_u32 v[25:26], s[6:7], s2, v2, 0
	v_addc_co_u32_e32 v6, vcc, v34, v6, vcc
	v_mov_b32_e32 v0, v26
	v_mad_u64_u32 v[26:27], s[6:7], s3, v2, v[0:1]
	v_add_u32_e32 v2, 0xff, v1
	v_mad_u64_u32 v[27:28], s[6:7], s2, v2, 0
	global_store_dwordx2 v[5:6], v[56:57], off
	v_lshlrev_b64 v[5:6], 3, v[30:31]
	v_fmac_f32_e32 v55, 0x3e9e377a, v76
	v_add_co_u32_e32 v5, vcc, v43, v5
	v_fmac_f32_e32 v54, 0x3e9e377a, v77
	v_addc_co_u32_e32 v6, vcc, v34, v6, vcc
	v_mov_b32_e32 v0, v28
	global_store_dwordx2 v[5:6], v[54:55], off
	v_lshlrev_b64 v[5:6], 3, v[25:26]
	v_mad_u64_u32 v[25:26], s[6:7], s3, v2, v[0:1]
	v_add_co_u32_e32 v5, vcc, v43, v5
	v_addc_co_u32_e32 v6, vcc, v34, v6, vcc
	v_mov_b32_e32 v28, v25
	v_add_u32_e32 v25, 34, v74
	global_store_dwordx2 v[5:6], v[32:33], off
	v_lshlrev_b64 v[5:6], 3, v[27:28]
	v_mul_hi_u32 v26, v25, s0
	v_add_co_u32_e32 v5, vcc, v43, v5
	v_addc_co_u32_e32 v6, vcc, v34, v6, vcc
	v_add_u32_e32 v2, 0x154, v1
	v_mad_u64_u32 v[0:1], s[6:7], s2, v2, 0
	global_store_dwordx2 v[5:6], v[41:42], off
	v_lshrrev_b32_e32 v5, 6, v26
	v_mul_lo_u32 v6, v5, s1
	v_mad_u64_u32 v[1:2], s[6:7], s3, v2, v[1:2]
	v_fmac_f32_e32 v53, 0x3e9e377a, v76
	v_sub_u32_e32 v2, v25, v6
	v_mad_u64_u32 v[5:6], s[6:7], v5, s4, v[2:3]
	v_lshlrev_b64 v[0:1], 3, v[0:1]
	v_fmac_f32_e32 v52, 0x3e9e377a, v77
	v_mad_u64_u32 v[25:26], s[6:7], s2, v5, 0
	v_add_u32_e32 v6, 0x55, v5
	v_add_co_u32_e32 v0, vcc, v43, v0
	v_mov_b32_e32 v2, v26
	v_mad_u64_u32 v[26:27], s[6:7], s3, v5, v[2:3]
	v_mad_u64_u32 v[27:28], s[6:7], s2, v6, 0
	v_addc_co_u32_e32 v1, vcc, v34, v1, vcc
	v_mov_b32_e32 v2, v28
	global_store_dwordx2 v[0:1], v[52:53], off
	v_lshlrev_b64 v[0:1], 3, v[25:26]
	v_mad_u64_u32 v[25:26], s[6:7], s3, v6, v[2:3]
	v_add_u32_e32 v6, 0xaa, v5
	v_add_co_u32_e32 v0, vcc, v43, v0
	v_mov_b32_e32 v28, v25
	v_mad_u64_u32 v[25:26], s[6:7], s2, v6, 0
	v_addc_co_u32_e32 v1, vcc, v34, v1, vcc
	v_mov_b32_e32 v2, v26
	global_store_dwordx2 v[0:1], v[38:39], off
	v_lshlrev_b64 v[0:1], 3, v[27:28]
	v_mad_u64_u32 v[26:27], s[6:7], s3, v6, v[2:3]
	v_add_u32_e32 v6, 0xff, v5
	v_mad_u64_u32 v[27:28], s[6:7], s2, v6, 0
	v_add_co_u32_e32 v0, vcc, v43, v0
	v_addc_co_u32_e32 v1, vcc, v34, v1, vcc
	v_mov_b32_e32 v2, v28
	global_store_dwordx2 v[0:1], v[49:50], off
	v_lshlrev_b64 v[0:1], 3, v[25:26]
	v_mad_u64_u32 v[25:26], s[6:7], s3, v6, v[2:3]
	v_add_co_u32_e32 v0, vcc, v43, v0
	v_mov_b32_e32 v28, v25
	v_add_u32_e32 v25, 51, v74
	v_mul_hi_u32 v26, v25, s0
	v_addc_co_u32_e32 v1, vcc, v34, v1, vcc
	v_add_u32_e32 v2, 0x154, v5
	global_store_dwordx2 v[0:1], v[47:48], off
	v_lshlrev_b64 v[0:1], 3, v[27:28]
	v_mad_u64_u32 v[5:6], s[6:7], s2, v2, 0
	v_lshrrev_b32_e32 v26, 6, v26
	v_add_co_u32_e32 v0, vcc, v43, v0
	v_mul_lo_u32 v27, v26, s1
	v_addc_co_u32_e32 v1, vcc, v34, v1, vcc
	global_store_dwordx2 v[0:1], v[44:45], off
	v_mov_b32_e32 v0, v6
	v_mad_u64_u32 v[0:1], s[6:7], s3, v2, v[0:1]
	v_sub_u32_e32 v1, v25, v27
	v_mad_u64_u32 v[1:2], s[6:7], v26, s4, v[1:2]
	v_mov_b32_e32 v6, v0
	v_lshlrev_b64 v[5:6], 3, v[5:6]
	v_mad_u64_u32 v[25:26], s[6:7], s2, v1, 0
	v_add_u32_e32 v2, 0x55, v1
	v_add_co_u32_e32 v5, vcc, v43, v5
	v_mov_b32_e32 v0, v26
	v_mad_u64_u32 v[26:27], s[6:7], s3, v1, v[0:1]
	v_mad_u64_u32 v[27:28], s[6:7], s2, v2, 0
	v_addc_co_u32_e32 v6, vcc, v34, v6, vcc
	v_mov_b32_e32 v0, v28
	global_store_dwordx2 v[5:6], v[11:12], off
	v_mad_u64_u32 v[11:12], s[6:7], s3, v2, v[0:1]
	v_add_u32_e32 v2, 0xaa, v1
	v_lshlrev_b64 v[5:6], 3, v[25:26]
	v_mov_b32_e32 v28, v11
	v_mad_u64_u32 v[11:12], s[6:7], s2, v2, 0
	v_add_co_u32_e32 v5, vcc, v43, v5
	v_mov_b32_e32 v0, v12
	v_addc_co_u32_e32 v6, vcc, v34, v6, vcc
	v_mad_u64_u32 v[25:26], s[6:7], s3, v2, v[0:1]
	v_add_u32_e32 v2, 0xff, v1
	global_store_dwordx2 v[5:6], v[35:36], off
	v_lshlrev_b64 v[5:6], 3, v[27:28]
	v_mad_u64_u32 v[26:27], s[6:7], s2, v2, 0
	v_add_co_u32_e32 v5, vcc, v43, v5
	v_addc_co_u32_e32 v6, vcc, v34, v6, vcc
	v_mov_b32_e32 v12, v25
	v_mov_b32_e32 v0, v27
	global_store_dwordx2 v[5:6], v[21:22], off
	v_lshlrev_b64 v[5:6], 3, v[11:12]
	v_mad_u64_u32 v[11:12], s[6:7], s3, v2, v[0:1]
	v_add_u32_e32 v2, 0x44, v74
	v_add_u32_e32 v21, 0x154, v1
	v_mov_b32_e32 v27, v11
	v_mul_hi_u32 v11, v2, s0
	v_mad_u64_u32 v[0:1], s[6:7], s2, v21, 0
	v_add_co_u32_e32 v5, vcc, v43, v5
	v_lshrrev_b32_e32 v11, 6, v11
	v_mul_lo_u32 v12, v11, s1
	v_addc_co_u32_e32 v6, vcc, v34, v6, vcc
	global_store_dwordx2 v[5:6], v[23:24], off
	v_sub_u32_e32 v2, v2, v12
	v_mad_u64_u32 v[11:12], s[0:1], v11, s4, v[2:3]
	v_mad_u64_u32 v[1:2], s[0:1], s3, v21, v[1:2]
	;; [unrolled: 1-line block ×3, first 2 shown]
	v_lshlrev_b64 v[5:6], 3, v[26:27]
	v_add_u32_e32 v12, 0x55, v11
	v_add_co_u32_e32 v5, vcc, v43, v5
	v_addc_co_u32_e32 v6, vcc, v34, v6, vcc
	v_mov_b32_e32 v2, v22
	global_store_dwordx2 v[5:6], v[19:20], off
	v_mad_u64_u32 v[5:6], s[0:1], s3, v11, v[2:3]
	v_lshlrev_b64 v[0:1], 3, v[0:1]
	v_mov_b32_e32 v22, v5
	v_mad_u64_u32 v[5:6], s[0:1], s2, v12, 0
	v_add_co_u32_e32 v0, vcc, v43, v0
	v_addc_co_u32_e32 v1, vcc, v34, v1, vcc
	v_mov_b32_e32 v2, v6
	global_store_dwordx2 v[0:1], v[17:18], off
	v_mad_u64_u32 v[17:18], s[0:1], s3, v12, v[2:3]
	v_add_u32_e32 v12, 0xaa, v11
	v_mad_u64_u32 v[18:19], s[0:1], s2, v12, 0
	v_lshlrev_b64 v[0:1], 3, v[21:22]
	v_mov_b32_e32 v6, v17
	v_add_co_u32_e32 v0, vcc, v43, v0
	v_addc_co_u32_e32 v1, vcc, v34, v1, vcc
	v_mov_b32_e32 v2, v19
	global_store_dwordx2 v[0:1], v[15:16], off
	v_lshlrev_b64 v[0:1], 3, v[5:6]
	v_mad_u64_u32 v[5:6], s[0:1], s3, v12, v[2:3]
	v_add_u32_e32 v12, 0xff, v11
	v_add_co_u32_e32 v0, vcc, v43, v0
	v_mov_b32_e32 v19, v5
	v_mad_u64_u32 v[5:6], s[0:1], s2, v12, 0
	v_addc_co_u32_e32 v1, vcc, v34, v1, vcc
	v_mov_b32_e32 v2, v6
	global_store_dwordx2 v[0:1], v[13:14], off
	v_mad_u64_u32 v[12:13], s[0:1], s3, v12, v[2:3]
	v_add_u32_e32 v11, 0x154, v11
	v_mad_u64_u32 v[13:14], s[0:1], s2, v11, 0
	v_lshlrev_b64 v[0:1], 3, v[18:19]
	v_mov_b32_e32 v6, v12
	v_add_co_u32_e32 v0, vcc, v43, v0
	v_addc_co_u32_e32 v1, vcc, v34, v1, vcc
	v_mov_b32_e32 v2, v14
	global_store_dwordx2 v[0:1], v[9:10], off
	v_lshlrev_b64 v[0:1], 3, v[5:6]
	v_mad_u64_u32 v[5:6], s[0:1], s3, v11, v[2:3]
	v_add_co_u32_e32 v0, vcc, v43, v0
	v_addc_co_u32_e32 v1, vcc, v34, v1, vcc
	v_mov_b32_e32 v14, v5
	global_store_dwordx2 v[0:1], v[7:8], off
	v_lshlrev_b64 v[0:1], 3, v[13:14]
	v_add_co_u32_e32 v0, vcc, v43, v0
	v_addc_co_u32_e32 v1, vcc, v34, v1, vcc
	global_store_dwordx2 v[0:1], v[3:4], off
.LBB0_20:
	s_endpgm
	.section	.rodata,"a",@progbits
	.p2align	6, 0x0
	.amdhsa_kernel fft_rtc_fwd_len425_factors_17_5_5_wgs_51_tpt_17_halfLds_sp_op_CI_CI_sbrr_dirReg
		.amdhsa_group_segment_fixed_size 0
		.amdhsa_private_segment_fixed_size 0
		.amdhsa_kernarg_size 104
		.amdhsa_user_sgpr_count 6
		.amdhsa_user_sgpr_private_segment_buffer 1
		.amdhsa_user_sgpr_dispatch_ptr 0
		.amdhsa_user_sgpr_queue_ptr 0
		.amdhsa_user_sgpr_kernarg_segment_ptr 1
		.amdhsa_user_sgpr_dispatch_id 0
		.amdhsa_user_sgpr_flat_scratch_init 0
		.amdhsa_user_sgpr_private_segment_size 0
		.amdhsa_uses_dynamic_stack 0
		.amdhsa_system_sgpr_private_segment_wavefront_offset 0
		.amdhsa_system_sgpr_workgroup_id_x 1
		.amdhsa_system_sgpr_workgroup_id_y 0
		.amdhsa_system_sgpr_workgroup_id_z 0
		.amdhsa_system_sgpr_workgroup_info 0
		.amdhsa_system_vgpr_workitem_id 0
		.amdhsa_next_free_vgpr 115
		.amdhsa_next_free_sgpr 32
		.amdhsa_reserve_vcc 1
		.amdhsa_reserve_flat_scratch 0
		.amdhsa_float_round_mode_32 0
		.amdhsa_float_round_mode_16_64 0
		.amdhsa_float_denorm_mode_32 3
		.amdhsa_float_denorm_mode_16_64 3
		.amdhsa_dx10_clamp 1
		.amdhsa_ieee_mode 1
		.amdhsa_fp16_overflow 0
		.amdhsa_exception_fp_ieee_invalid_op 0
		.amdhsa_exception_fp_denorm_src 0
		.amdhsa_exception_fp_ieee_div_zero 0
		.amdhsa_exception_fp_ieee_overflow 0
		.amdhsa_exception_fp_ieee_underflow 0
		.amdhsa_exception_fp_ieee_inexact 0
		.amdhsa_exception_int_div_zero 0
	.end_amdhsa_kernel
	.text
.Lfunc_end0:
	.size	fft_rtc_fwd_len425_factors_17_5_5_wgs_51_tpt_17_halfLds_sp_op_CI_CI_sbrr_dirReg, .Lfunc_end0-fft_rtc_fwd_len425_factors_17_5_5_wgs_51_tpt_17_halfLds_sp_op_CI_CI_sbrr_dirReg
                                        ; -- End function
	.section	.AMDGPU.csdata,"",@progbits
; Kernel info:
; codeLenInByte = 20716
; NumSgprs: 36
; NumVgprs: 115
; ScratchSize: 0
; MemoryBound: 0
; FloatMode: 240
; IeeeMode: 1
; LDSByteSize: 0 bytes/workgroup (compile time only)
; SGPRBlocks: 4
; VGPRBlocks: 28
; NumSGPRsForWavesPerEU: 36
; NumVGPRsForWavesPerEU: 115
; Occupancy: 2
; WaveLimiterHint : 1
; COMPUTE_PGM_RSRC2:SCRATCH_EN: 0
; COMPUTE_PGM_RSRC2:USER_SGPR: 6
; COMPUTE_PGM_RSRC2:TRAP_HANDLER: 0
; COMPUTE_PGM_RSRC2:TGID_X_EN: 1
; COMPUTE_PGM_RSRC2:TGID_Y_EN: 0
; COMPUTE_PGM_RSRC2:TGID_Z_EN: 0
; COMPUTE_PGM_RSRC2:TIDIG_COMP_CNT: 0
	.type	__hip_cuid_a5804731d08269e8,@object ; @__hip_cuid_a5804731d08269e8
	.section	.bss,"aw",@nobits
	.globl	__hip_cuid_a5804731d08269e8
__hip_cuid_a5804731d08269e8:
	.byte	0                               ; 0x0
	.size	__hip_cuid_a5804731d08269e8, 1

	.ident	"AMD clang version 19.0.0git (https://github.com/RadeonOpenCompute/llvm-project roc-6.4.0 25133 c7fe45cf4b819c5991fe208aaa96edf142730f1d)"
	.section	".note.GNU-stack","",@progbits
	.addrsig
	.addrsig_sym __hip_cuid_a5804731d08269e8
	.amdgpu_metadata
---
amdhsa.kernels:
  - .args:
      - .actual_access:  read_only
        .address_space:  global
        .offset:         0
        .size:           8
        .value_kind:     global_buffer
      - .offset:         8
        .size:           8
        .value_kind:     by_value
      - .actual_access:  read_only
        .address_space:  global
        .offset:         16
        .size:           8
        .value_kind:     global_buffer
      - .actual_access:  read_only
        .address_space:  global
        .offset:         24
        .size:           8
        .value_kind:     global_buffer
      - .actual_access:  read_only
        .address_space:  global
        .offset:         32
        .size:           8
        .value_kind:     global_buffer
      - .offset:         40
        .size:           8
        .value_kind:     by_value
      - .actual_access:  read_only
        .address_space:  global
        .offset:         48
        .size:           8
        .value_kind:     global_buffer
      - .actual_access:  read_only
        .address_space:  global
        .offset:         56
        .size:           8
        .value_kind:     global_buffer
      - .offset:         64
        .size:           4
        .value_kind:     by_value
      - .actual_access:  read_only
        .address_space:  global
        .offset:         72
        .size:           8
        .value_kind:     global_buffer
      - .actual_access:  read_only
        .address_space:  global
        .offset:         80
        .size:           8
        .value_kind:     global_buffer
      - .actual_access:  read_only
        .address_space:  global
        .offset:         88
        .size:           8
        .value_kind:     global_buffer
      - .actual_access:  write_only
        .address_space:  global
        .offset:         96
        .size:           8
        .value_kind:     global_buffer
    .group_segment_fixed_size: 0
    .kernarg_segment_align: 8
    .kernarg_segment_size: 104
    .language:       OpenCL C
    .language_version:
      - 2
      - 0
    .max_flat_workgroup_size: 51
    .name:           fft_rtc_fwd_len425_factors_17_5_5_wgs_51_tpt_17_halfLds_sp_op_CI_CI_sbrr_dirReg
    .private_segment_fixed_size: 0
    .sgpr_count:     36
    .sgpr_spill_count: 0
    .symbol:         fft_rtc_fwd_len425_factors_17_5_5_wgs_51_tpt_17_halfLds_sp_op_CI_CI_sbrr_dirReg.kd
    .uniform_work_group_size: 1
    .uses_dynamic_stack: false
    .vgpr_count:     115
    .vgpr_spill_count: 0
    .wavefront_size: 64
amdhsa.target:   amdgcn-amd-amdhsa--gfx906
amdhsa.version:
  - 1
  - 2
...

	.end_amdgpu_metadata
